;; amdgpu-corpus repo=zjin-lcf/HeCBench kind=compiled arch=gfx1030 opt=O3
	.amdgcn_target "amdgcn-amd-amdhsa--gfx1030"
	.amdhsa_code_object_version 6
	.text
	.protected	_Z8fill_sigPdS_S_PKdS1_i ; -- Begin function _Z8fill_sigPdS_S_PKdS1_i
	.globl	_Z8fill_sigPdS_S_PKdS1_i
	.p2align	8
	.type	_Z8fill_sigPdS_S_PKdS1_i,@function
_Z8fill_sigPdS_S_PKdS1_i:               ; @_Z8fill_sigPdS_S_PKdS1_i
; %bb.0:
	s_clause 0x1
	s_load_dword s0, s[4:5], 0x3c
	s_load_dword s1, s[4:5], 0x28
	s_waitcnt lgkmcnt(0)
	s_and_b32 s0, s0, 0xffff
	v_mad_u64_u32 v[0:1], null, s6, s0, v[0:1]
	s_mov_b32 s0, exec_lo
	v_cmpx_gt_i32_e64 s1, v0
	s_cbranch_execz .LBB0_2
; %bb.1:
	s_clause 0x1
	s_load_dwordx8 s[8:15], s[4:5], 0x0
	s_load_dwordx2 s[0:1], s[4:5], 0x20
	v_ashrrev_i32_e32 v1, 31, v0
	v_lshlrev_b64 v[0:1], 3, v[0:1]
	s_waitcnt lgkmcnt(0)
	v_add_co_u32 v2, vcc_lo, s14, v0
	v_add_co_ci_u32_e64 v3, null, s15, v1, vcc_lo
	v_add_co_u32 v4, vcc_lo, s0, v0
	v_add_co_ci_u32_e64 v5, null, s1, v1, vcc_lo
	global_load_dwordx2 v[2:3], v[2:3], off
	global_load_dwordx2 v[4:5], v[4:5], off
	s_waitcnt vmcnt(0)
	v_add_f64 v[2:3], -v[2:3], -v[4:5]
	v_add_co_u32 v4, vcc_lo, s12, v0
	v_add_co_ci_u32_e64 v5, null, s13, v1, vcc_lo
	v_add_co_u32 v6, vcc_lo, s10, v0
	v_add_co_ci_u32_e64 v7, null, s11, v1, vcc_lo
	;; [unrolled: 2-line block ×3, first 2 shown]
	global_store_dwordx2 v[4:5], v[2:3], off
	global_store_dwordx2 v[6:7], v[2:3], off
	;; [unrolled: 1-line block ×3, first 2 shown]
.LBB0_2:
	s_endpgm
	.section	.rodata,"a",@progbits
	.p2align	6, 0x0
	.amdhsa_kernel _Z8fill_sigPdS_S_PKdS1_i
		.amdhsa_group_segment_fixed_size 0
		.amdhsa_private_segment_fixed_size 0
		.amdhsa_kernarg_size 304
		.amdhsa_user_sgpr_count 6
		.amdhsa_user_sgpr_private_segment_buffer 1
		.amdhsa_user_sgpr_dispatch_ptr 0
		.amdhsa_user_sgpr_queue_ptr 0
		.amdhsa_user_sgpr_kernarg_segment_ptr 1
		.amdhsa_user_sgpr_dispatch_id 0
		.amdhsa_user_sgpr_flat_scratch_init 0
		.amdhsa_user_sgpr_private_segment_size 0
		.amdhsa_wavefront_size32 1
		.amdhsa_uses_dynamic_stack 0
		.amdhsa_system_sgpr_private_segment_wavefront_offset 0
		.amdhsa_system_sgpr_workgroup_id_x 1
		.amdhsa_system_sgpr_workgroup_id_y 0
		.amdhsa_system_sgpr_workgroup_id_z 0
		.amdhsa_system_sgpr_workgroup_info 0
		.amdhsa_system_vgpr_workitem_id 0
		.amdhsa_next_free_vgpr 8
		.amdhsa_next_free_sgpr 16
		.amdhsa_reserve_vcc 1
		.amdhsa_reserve_flat_scratch 0
		.amdhsa_float_round_mode_32 0
		.amdhsa_float_round_mode_16_64 0
		.amdhsa_float_denorm_mode_32 3
		.amdhsa_float_denorm_mode_16_64 3
		.amdhsa_dx10_clamp 1
		.amdhsa_ieee_mode 1
		.amdhsa_fp16_overflow 0
		.amdhsa_workgroup_processor_mode 1
		.amdhsa_memory_ordered 1
		.amdhsa_forward_progress 1
		.amdhsa_shared_vgpr_count 0
		.amdhsa_exception_fp_ieee_invalid_op 0
		.amdhsa_exception_fp_denorm_src 0
		.amdhsa_exception_fp_ieee_div_zero 0
		.amdhsa_exception_fp_ieee_overflow 0
		.amdhsa_exception_fp_ieee_underflow 0
		.amdhsa_exception_fp_ieee_inexact 0
		.amdhsa_exception_int_div_zero 0
	.end_amdhsa_kernel
	.text
.Lfunc_end0:
	.size	_Z8fill_sigPdS_S_PKdS1_i, .Lfunc_end0-_Z8fill_sigPdS_S_PKdS1_i
                                        ; -- End function
	.set _Z8fill_sigPdS_S_PKdS1_i.num_vgpr, 8
	.set _Z8fill_sigPdS_S_PKdS1_i.num_agpr, 0
	.set _Z8fill_sigPdS_S_PKdS1_i.numbered_sgpr, 16
	.set _Z8fill_sigPdS_S_PKdS1_i.num_named_barrier, 0
	.set _Z8fill_sigPdS_S_PKdS1_i.private_seg_size, 0
	.set _Z8fill_sigPdS_S_PKdS1_i.uses_vcc, 1
	.set _Z8fill_sigPdS_S_PKdS1_i.uses_flat_scratch, 0
	.set _Z8fill_sigPdS_S_PKdS1_i.has_dyn_sized_stack, 0
	.set _Z8fill_sigPdS_S_PKdS1_i.has_recursion, 0
	.set _Z8fill_sigPdS_S_PKdS1_i.has_indirect_call, 0
	.section	.AMDGPU.csdata,"",@progbits
; Kernel info:
; codeLenInByte = 228
; TotalNumSgprs: 18
; NumVgprs: 8
; ScratchSize: 0
; MemoryBound: 0
; FloatMode: 240
; IeeeMode: 1
; LDSByteSize: 0 bytes/workgroup (compile time only)
; SGPRBlocks: 0
; VGPRBlocks: 0
; NumSGPRsForWavesPerEU: 18
; NumVGPRsForWavesPerEU: 8
; Occupancy: 16
; WaveLimiterHint : 0
; COMPUTE_PGM_RSRC2:SCRATCH_EN: 0
; COMPUTE_PGM_RSRC2:USER_SGPR: 6
; COMPUTE_PGM_RSRC2:TRAP_HANDLER: 0
; COMPUTE_PGM_RSRC2:TGID_X_EN: 1
; COMPUTE_PGM_RSRC2:TGID_Y_EN: 0
; COMPUTE_PGM_RSRC2:TGID_Z_EN: 0
; COMPUTE_PGM_RSRC2:TIDIG_COMP_CNT: 0
	.text
	.protected	_Z15integrateStressPdS_S_PKdS1_S1_PKiS1_S1_S1_S_i ; -- Begin function _Z15integrateStressPdS_S_PKdS1_S1_PKiS1_S1_S1_S_i
	.globl	_Z15integrateStressPdS_S_PKdS1_S1_PKiS1_S1_S1_S_i
	.p2align	8
	.type	_Z15integrateStressPdS_S_PKdS1_S1_PKiS1_S1_S1_S_i,@function
_Z15integrateStressPdS_S_PKdS1_S1_PKiS1_S1_S1_S_i: ; @_Z15integrateStressPdS_S_PKdS1_S1_PKiS1_S1_S1_S_i
; %bb.0:
	s_clause 0x1
	s_load_dword s0, s[4:5], 0x6c
	s_load_dword s1, s[4:5], 0x58
	s_waitcnt lgkmcnt(0)
	s_and_b32 s0, s0, 0xffff
	v_mad_u64_u32 v[6:7], null, s6, s0, v[0:1]
	s_mov_b32 s0, exec_lo
	v_cmpx_gt_i32_e64 s1, v6
	s_cbranch_execz .LBB1_2
; %bb.1:
	s_load_dwordx8 s[16:23], s[4:5], 0x20
	v_lshlrev_b32_e32 v4, 3, v6
	s_load_dwordx8 s[8:15], s[4:5], 0x0
	v_ashrrev_i32_e32 v5, 31, v4
	v_lshlrev_b64 v[0:1], 2, v[4:5]
	s_waitcnt lgkmcnt(0)
	v_add_co_u32 v0, vcc_lo, s20, v0
	v_add_co_ci_u32_e64 v1, null, s21, v1, vcc_lo
	s_clause 0x1
	global_load_dwordx4 v[13:16], v[0:1], off
	global_load_dwordx4 v[0:3], v[0:1], off offset:16
	s_waitcnt vmcnt(1)
	v_ashrrev_i32_e32 v8, 31, v14
	v_mov_b32_e32 v7, v14
	v_ashrrev_i32_e32 v10, 31, v15
	v_mov_b32_e32 v9, v15
	s_waitcnt vmcnt(0)
	v_ashrrev_i32_e32 v21, 31, v2
	v_mov_b32_e32 v20, v2
	v_ashrrev_i32_e32 v23, 31, v3
	v_mov_b32_e32 v22, v3
	v_lshlrev_b64 v[2:3], 3, v[7:8]
	v_ashrrev_i32_e32 v12, 31, v16
	v_mov_b32_e32 v11, v16
	v_ashrrev_i32_e32 v14, 31, v13
	v_ashrrev_i32_e32 v16, 31, v1
	v_mov_b32_e32 v15, v1
	v_lshlrev_b64 v[7:8], 3, v[9:10]
	v_ashrrev_i32_e32 v1, 31, v0
	v_lshlrev_b64 v[9:10], 3, v[11:12]
	v_lshlrev_b64 v[11:12], 3, v[13:14]
	v_lshlrev_b64 v[13:14], 3, v[15:16]
	v_add_co_u32 v15, vcc_lo, s16, v2
	v_lshlrev_b64 v[18:19], 3, v[0:1]
	v_lshlrev_b64 v[0:1], 3, v[20:21]
	;; [unrolled: 1-line block ×3, first 2 shown]
	v_add_co_ci_u32_e64 v16, null, s17, v3, vcc_lo
	v_add_co_u32 v22, vcc_lo, s16, v7
	v_add_co_ci_u32_e64 v23, null, s17, v8, vcc_lo
	v_add_co_u32 v24, vcc_lo, s18, v7
	;; [unrolled: 2-line block ×21, first 2 shown]
	v_add_co_ci_u32_e64 v65, null, s19, v21, vcc_lo
	s_clause 0x2
	global_load_dwordx2 v[0:1], v[24:25], off
	global_load_dwordx2 v[8:9], v[26:27], off
	;; [unrolled: 1-line block ×3, first 2 shown]
	s_clause 0x6
	global_load_dwordx2 v[66:67], v[15:16], off
	global_load_dwordx2 v[2:3], v[22:23], off
	;; [unrolled: 1-line block ×7, first 2 shown]
	s_clause 0x3
	global_load_dwordx2 v[14:15], v[28:29], off
	global_load_dwordx2 v[108:109], v[30:31], off
	global_load_dwordx2 v[80:81], v[36:37], off
	global_load_dwordx2 v[102:103], v[46:47], off
	s_clause 0x3
	global_load_dwordx2 v[16:17], v[42:43], off
	global_load_dwordx2 v[70:71], v[12:13], off
	global_load_dwordx2 v[72:73], v[64:65], off
	global_load_dwordx2 v[12:13], v[54:55], off
	;; [unrolled: 5-line block ×3, first 2 shown]
	v_add_co_u32 v20, vcc_lo, s14, v20
	v_add_co_ci_u32_e64 v21, null, s15, v21, vcc_lo
	v_add_co_u32 v18, vcc_lo, s14, v18
	v_add_co_ci_u32_e64 v19, null, s15, v19, vcc_lo
	s_clause 0x1
	global_load_dwordx2 v[98:99], v[20:21], off
	global_load_dwordx2 v[18:19], v[18:19], off
	s_clause 0x1
	s_load_dwordx4 s[0:3], s[4:5], 0x40
	s_load_dwordx2 s[4:5], s[4:5], 0x50
	v_ashrrev_i32_e32 v7, 31, v6
	v_lshlrev_b64 v[6:7], 3, v[6:7]
	s_waitcnt vmcnt(22)
	v_add_f64 v[34:35], v[0:1], v[8:9]
	s_waitcnt vmcnt(21)
	v_add_f64 v[36:37], v[52:53], v[0:1]
	;; [unrolled: 2-line block ×6, first 2 shown]
	v_add_f64 v[84:85], v[2:3], v[32:33]
	s_waitcnt vmcnt(14)
	v_add_f64 v[24:25], v[10:11], v[62:63]
	v_add_f64 v[60:61], v[62:63], -v[48:49]
	s_waitcnt vmcnt(12)
	v_add_f64 v[58:59], v[14:15], v[108:109]
	s_waitcnt vmcnt(11)
	v_add_f64 v[74:75], v[80:81], v[14:15]
	s_waitcnt vmcnt(10)
	v_add_f64 v[50:51], v[102:103], -v[108:109]
	s_waitcnt vmcnt(9)
	v_add_f64 v[38:39], v[52:53], v[16:17]
	v_add_f64 v[82:83], v[16:17], -v[8:9]
	v_add_f64 v[76:77], v[80:81], v[102:103]
	s_waitcnt vmcnt(6)
	v_add_f64 v[40:41], v[12:13], v[16:17]
	v_add_f64 v[46:47], v[0:1], v[70:71]
	s_waitcnt vmcnt(4)
	v_add_f64 v[42:43], v[94:95], -v[78:79]
	s_waitcnt vmcnt(3)
	v_add_f64 v[54:55], v[32:33], -v[26:27]
	;; [unrolled: 2-line block ×3, first 2 shown]
	v_add_f64 v[92:93], v[16:17], v[70:71]
	v_add_f64 v[88:89], v[10:11], v[68:69]
	;; [unrolled: 1-line block ×4, first 2 shown]
	v_add_f64 v[20:21], v[20:21], -v[48:49]
	v_add_f64 v[22:23], v[22:23], -v[66:67]
	;; [unrolled: 1-line block ×3, first 2 shown]
	v_add_f64 v[104:105], v[12:13], v[72:73]
	v_add_f64 v[106:107], v[34:35], -v[52:53]
	v_add_f64 v[90:91], v[24:25], -v[66:67]
	;; [unrolled: 1-line block ×3, first 2 shown]
	v_add_f64 v[114:115], v[30:31], v[12:13]
	v_add_f64 v[116:117], v[8:9], v[72:73]
	v_add_f64 v[118:119], v[84:85], -v[62:63]
	v_add_f64 v[110:111], v[38:39], -v[12:13]
	s_waitcnt vmcnt(0)
	v_add_f64 v[122:123], v[18:19], v[102:103]
	v_add_f64 v[112:113], v[40:41], -v[52:53]
	v_add_f64 v[124:125], v[46:47], -v[16:17]
	v_add_f64 v[44:45], v[50:51], v[42:43]
	v_add_f64 v[56:57], v[42:43], -v[50:51]
	v_add_f64 v[40:41], v[82:83], v[64:65]
	v_add_f64 v[50:51], v[64:65], -v[82:83]
	v_add_f64 v[82:83], v[86:87], -v[2:3]
	v_add_f64 v[42:43], v[60:61], v[54:55]
	v_add_f64 v[54:55], v[54:55], -v[60:61]
	v_add_f64 v[120:121], v[88:89], -v[26:27]
	;; [unrolled: 1-line block ×12, first 2 shown]
	v_add_f64 v[110:111], v[32:33], v[68:69]
	v_add_f64 v[64:65], v[86:87], -v[68:69]
	v_add_f64 v[26:27], v[112:113], -v[30:31]
	;; [unrolled: 1-line block ×6, first 2 shown]
	v_add_f64 v[88:89], v[70:71], v[72:73]
	v_add_f64 v[32:33], v[82:83], -v[66:67]
	v_add_f64 v[66:67], v[18:19], v[98:99]
	v_add_f64 v[90:91], v[114:115], -v[72:73]
	v_add_f64 v[70:71], v[92:93], -v[72:73]
	;; [unrolled: 1-line block ×8, first 2 shown]
	v_add_f64 v[100:101], v[108:109], v[98:99]
	v_add_f64 v[52:53], v[104:105], -v[52:53]
	v_add_f64 v[104:105], v[94:95], v[98:99]
	v_add_f64 v[106:107], v[98:99], -v[80:81]
	v_add_f64 v[84:85], v[84:85], -v[8:9]
	v_add_f64 v[60:61], v[60:61], -v[2:3]
	v_add_f64 v[64:65], v[64:65], -v[10:11]
	v_mul_f64 v[38:39], v[38:39], 0.5
	v_add_f64 v[54:55], v[54:55], v[86:87]
	v_mul_f64 v[34:35], v[34:35], 0.5
	v_mul_f64 v[36:37], v[36:37], 0.5
	v_add_f64 v[16:17], v[88:89], -v[16:17]
	v_add_f64 v[88:89], v[88:89], -v[8:9]
	;; [unrolled: 1-line block ×3, first 2 shown]
	v_add_f64 v[66:67], v[78:79], v[18:19]
	v_add_f64 v[90:91], v[90:91], -v[8:9]
	v_add_co_u32 v8, vcc_lo, s22, v6
	v_add_f64 v[82:83], v[68:69], -v[78:79]
	v_add_f64 v[76:77], v[72:73], -v[78:79]
	;; [unrolled: 1-line block ×4, first 2 shown]
	v_add_f64 v[68:69], v[14:15], v[94:95]
	v_add_f64 v[78:79], v[102:103], v[94:95]
	v_add_f64 v[96:97], v[100:101], -v[94:95]
	v_add_f64 v[94:95], v[110:111], -v[62:63]
	v_add_f64 v[56:57], v[56:57], v[106:107]
	v_add_f64 v[50:51], v[50:51], v[92:93]
	v_add_co_ci_u32_e64 v9, null, s23, v7, vcc_lo
	v_add_f64 v[70:71], v[70:71], -v[12:13]
	v_mul_f64 v[24:25], v[24:25], 0.5
	v_mul_f64 v[28:29], v[28:29], 0.5
	v_mul_f64 v[22:23], v[22:23], 0.5
	v_mul_f64 v[58:59], v[58:59], 0.5
	v_add_f64 v[62:63], v[114:115], -v[108:109]
	v_add_f64 v[116:117], v[66:67], -v[98:99]
	v_mul_f64 v[32:33], v[32:33], 0.5
	v_mul_f64 v[26:27], v[26:27], 0.5
	;; [unrolled: 1-line block ×7, first 2 shown]
	v_add_f64 v[68:69], v[68:69], -v[102:103]
	v_add_f64 v[100:101], v[78:79], -v[98:99]
	v_add_f64 v[102:103], v[104:105], -v[102:103]
	v_add_f64 v[104:105], v[104:105], -v[108:109]
	v_add_f64 v[98:99], v[110:111], -v[48:49]
	v_add_f64 v[66:67], v[78:79], -v[14:15]
	v_add_f64 v[94:95], v[94:95], -v[10:11]
	v_mul_f64 v[30:31], v[30:31], 0.5
	v_mul_f64 v[60:61], v[60:61], 0.5
	;; [unrolled: 1-line block ×6, first 2 shown]
	v_add_f64 v[78:79], v[68:69], -v[80:81]
	v_add_f64 v[68:69], v[116:117], -v[108:109]
	v_add_f64 v[108:109], v[44:45], -v[106:107]
	v_add_f64 v[44:45], v[44:45], v[106:107]
	v_add_f64 v[106:107], v[42:43], -v[86:87]
	v_add_f64 v[42:43], v[42:43], v[86:87]
	v_add_f64 v[86:87], v[40:41], -v[92:93]
	;; [unrolled: 2-line block ×3, first 2 shown]
	v_add_f64 v[96:97], v[104:105], -v[14:15]
	v_add_f64 v[104:105], v[18:19], -v[14:15]
	v_add_f64 v[100:101], v[100:101], -v[18:19]
	v_add_f64 v[18:19], v[102:103], -v[18:19]
	s_waitcnt lgkmcnt(0)
	v_add_co_u32 v102, vcc_lo, s0, v6
	v_add_co_ci_u32_e64 v103, null, s1, v7, vcc_lo
	global_load_dwordx2 v[14:15], v[8:9], off
	global_load_dwordx2 v[8:9], v[102:103], off
	v_add_f64 v[98:99], v[98:99], -v[2:3]
	v_add_f64 v[102:103], v[10:11], -v[2:3]
	v_add_co_u32 v2, vcc_lo, s2, v6
	v_add_co_ci_u32_e64 v3, null, s3, v7, vcc_lo
	v_add_f64 v[80:81], v[66:67], -v[80:81]
	v_add_f64 v[66:67], v[120:121], -v[48:49]
	v_mul_f64 v[78:79], v[78:79], 0.5
	global_load_dwordx2 v[10:11], v[2:3], off
	v_lshlrev_b64 v[2:3], 3, v[4:5]
	v_add_f64 v[4:5], v[46:47], -v[0:1]
	v_add_f64 v[46:47], v[88:89], -v[0:1]
	v_add_f64 v[0:1], v[12:13], -v[0:1]
	v_add_f64 v[12:13], v[16:17], -v[12:13]
	v_mul_f64 v[16:17], v[82:83], 0.5
	v_mul_f64 v[82:83], v[34:35], v[38:39]
	v_add_f64 v[44:45], v[104:105], v[44:45]
	v_add_f64 v[56:57], v[56:57], -v[104:105]
	v_mul_f64 v[92:93], v[92:93], 0.5
	v_add_f64 v[48:49], v[112:113], -v[48:49]
	v_mul_f64 v[96:97], v[96:97], 0.5
	v_mul_f64 v[88:89], v[98:99], 0.5
	v_add_f64 v[98:99], v[108:109], -v[104:105]
	v_add_f64 v[106:107], v[106:107], -v[102:103]
	;; [unrolled: 1-line block ×3, first 2 shown]
	v_add_f64 v[42:43], v[102:103], v[42:43]
	v_mul_f64 v[102:103], v[32:33], v[58:59]
	v_mul_f64 v[80:81], v[80:81], 0.5
	v_mul_f64 v[66:67], v[66:67], 0.5
	;; [unrolled: 1-line block ×7, first 2 shown]
	v_add_f64 v[86:87], v[86:87], -v[0:1]
	v_add_f64 v[40:41], v[0:1], v[40:41]
	v_mul_f64 v[104:105], v[16:17], v[36:37]
	v_fma_f64 v[36:37], v[24:25], v[36:37], -v[82:83]
	v_mul_f64 v[24:25], v[76:77], v[24:25]
	v_mul_f64 v[82:83], v[84:85], 0.5
	v_mul_f64 v[84:85], v[22:23], v[28:29]
	v_ldexp_f64 v[44:45], v[44:45], -3
	v_add_f64 v[0:1], v[50:51], -v[0:1]
	v_mul_f64 v[50:51], v[74:75], v[26:27]
	v_mul_f64 v[12:13], v[12:13], 0.5
	v_mul_f64 v[48:49], v[48:49], 0.5
	v_ldexp_f64 v[98:99], v[98:99], -3
	v_mul_f64 v[18:19], v[18:19], 0.5
	v_ldexp_f64 v[42:43], v[42:43], -3
	v_ldexp_f64 v[54:55], v[54:55], -3
	;; [unrolled: 1-line block ×5, first 2 shown]
	v_fma_f64 v[38:39], v[76:77], v[38:39], -v[104:105]
	v_mul_f64 v[76:77], v[88:89], v[4:5]
	v_mul_f64 v[104:105], v[78:79], v[52:53]
	v_fma_f64 v[16:17], v[16:17], v[34:35], -v[24:25]
	v_mul_f64 v[34:35], v[72:73], v[20:21]
	v_fma_f64 v[20:21], v[20:21], v[26:27], -v[84:85]
	v_mul_f64 v[26:27], v[92:93], v[46:47]
	v_ldexp_f64 v[84:85], v[106:107], -3
	v_mul_f64 v[24:25], v[80:81], v[30:31]
	v_fma_f64 v[30:31], v[30:31], v[52:53], -v[102:103]
	v_mul_f64 v[106:107], v[96:97], v[60:61]
	v_mul_f64 v[102:103], v[66:67], v[90:91]
	v_fma_f64 v[28:29], v[72:73], v[28:29], -v[50:51]
	v_fma_f64 v[36:37], 0x3fd00000, v[36:37], 0
	v_ldexp_f64 v[0:1], v[0:1], -3
	v_mul_f64 v[52:53], v[44:45], v[86:87]
	v_fma_f64 v[38:39], 0x3fd00000, v[38:39], 0
	v_fma_f64 v[46:47], v[60:61], v[46:47], -v[76:77]
	v_mul_f64 v[76:77], v[68:69], v[82:83]
	v_fma_f64 v[58:59], v[80:81], v[58:59], -v[104:105]
	v_mul_f64 v[104:105], v[94:95], v[70:71]
	v_mul_f64 v[80:81], v[62:63], v[48:49]
	v_fma_f64 v[4:5], v[96:97], v[4:5], -v[26:27]
	v_mul_f64 v[50:51], v[84:85], v[40:41]
	v_fma_f64 v[24:25], v[78:79], v[32:33], -v[24:25]
	v_mul_f64 v[32:33], v[100:101], v[12:13]
	v_fma_f64 v[22:23], v[74:75], v[22:23], -v[34:35]
	v_mul_f64 v[78:79], v[18:19], v[64:65]
	v_fma_f64 v[26:27], v[92:93], v[88:89], -v[106:107]
	v_mul_f64 v[34:35], v[98:99], v[42:43]
	v_fma_f64 v[48:49], v[48:49], v[82:83], -v[102:103]
	v_fma_f64 v[72:73], 0x3fd00000, v[20:21], 0
	v_fma_f64 v[16:17], 0x3fd00000, v[16:17], 0
	;; [unrolled: 1-line block ×3, first 2 shown]
	v_add_co_u32 v60, vcc_lo, s8, v2
	v_fma_f64 v[40:41], v[98:99], v[40:41], -v[52:53]
	v_fma_f64 v[52:53], 0x3fd00000, v[30:31], 0
	v_add_co_ci_u32_e64 v61, null, s9, v3, vcc_lo
	v_fma_f64 v[74:75], 0x3fd00000, v[46:47], 0
	v_fma_f64 v[62:63], v[62:63], v[90:91], -v[76:77]
	v_fma_f64 v[12:13], v[64:65], v[12:13], -v[104:105]
	v_fma_f64 v[64:65], 0x3fd00000, v[58:59], 0
	v_fma_f64 v[66:67], v[68:69], v[66:67], -v[80:81]
	v_fma_f64 v[42:43], v[42:43], v[86:87], -v[50:51]
	v_fma_f64 v[50:51], 0x3fd00000, v[4:5], 0
	v_fma_f64 v[18:19], v[18:19], v[70:71], -v[32:33]
	v_fma_f64 v[70:71], 0x3fd00000, v[28:29], 0
	v_fma_f64 v[76:77], 0x3fd00000, v[22:23], 0
	v_fma_f64 v[32:33], v[100:101], v[94:95], -v[78:79]
	v_fma_f64 v[68:69], 0x3fd00000, v[24:25], 0
	;; [unrolled: 3-line block ×3, first 2 shown]
	v_fma_f64 v[28:29], 0x3fd00000, v[28:29], v[38:39]
	v_fma_f64 v[82:83], 0x3fd00000, v[24:25], v[16:17]
	;; [unrolled: 1-line block ×3, first 2 shown]
	v_mul_f64 v[40:41], v[54:55], v[40:41]
	v_fma_f64 v[54:55], 0x3fd00000, v[48:49], v[72:73]
	v_fma_f64 v[16:17], 0x3fd00000, v[26:27], v[16:17]
	;; [unrolled: 1-line block ×42, first 2 shown]
	v_ldexp_f64 v[0:1], v[0:1], 3
	s_waitcnt vmcnt(2)
	v_mul_f64 v[16:17], v[14:15], -v[20:21]
	v_mul_f64 v[18:19], v[14:15], -v[30:31]
	s_waitcnt vmcnt(1)
	v_mul_f64 v[28:29], v[8:9], -v[28:29]
	v_mul_f64 v[30:31], v[8:9], -v[54:55]
	;; [unrolled: 1-line block ×9, first 2 shown]
	s_waitcnt vmcnt(0)
	v_mul_f64 v[40:41], v[10:11], -v[66:67]
	v_mul_f64 v[42:43], v[10:11], -v[56:57]
	;; [unrolled: 1-line block ×13, first 2 shown]
	v_add_co_u32 v4, vcc_lo, s10, v2
	v_add_co_ci_u32_e64 v5, null, s11, v3, vcc_lo
	v_add_co_u32 v2, vcc_lo, s12, v2
	v_add_co_ci_u32_e64 v3, null, s13, v3, vcc_lo
	;; [unrolled: 2-line block ×3, first 2 shown]
	global_store_dwordx4 v[60:61], v[16:19], off
	global_store_dwordx4 v[4:5], v[28:31], off
	;; [unrolled: 1-line block ×3, first 2 shown]
	global_store_dwordx4 v[60:61], v[20:23], off offset:16
	global_store_dwordx4 v[4:5], v[32:35], off offset:16
	;; [unrolled: 1-line block ×8, first 2 shown]
	global_store_dwordx2 v[6:7], v[0:1], off
	global_store_dwordx4 v[2:3], v[8:11], off offset:48
.LBB1_2:
	s_endpgm
	.section	.rodata,"a",@progbits
	.p2align	6, 0x0
	.amdhsa_kernel _Z15integrateStressPdS_S_PKdS1_S1_PKiS1_S1_S1_S_i
		.amdhsa_group_segment_fixed_size 0
		.amdhsa_private_segment_fixed_size 0
		.amdhsa_kernarg_size 352
		.amdhsa_user_sgpr_count 6
		.amdhsa_user_sgpr_private_segment_buffer 1
		.amdhsa_user_sgpr_dispatch_ptr 0
		.amdhsa_user_sgpr_queue_ptr 0
		.amdhsa_user_sgpr_kernarg_segment_ptr 1
		.amdhsa_user_sgpr_dispatch_id 0
		.amdhsa_user_sgpr_flat_scratch_init 0
		.amdhsa_user_sgpr_private_segment_size 0
		.amdhsa_wavefront_size32 1
		.amdhsa_uses_dynamic_stack 0
		.amdhsa_system_sgpr_private_segment_wavefront_offset 0
		.amdhsa_system_sgpr_workgroup_id_x 1
		.amdhsa_system_sgpr_workgroup_id_y 0
		.amdhsa_system_sgpr_workgroup_id_z 0
		.amdhsa_system_sgpr_workgroup_info 0
		.amdhsa_system_vgpr_workitem_id 0
		.amdhsa_next_free_vgpr 126
		.amdhsa_next_free_sgpr 24
		.amdhsa_reserve_vcc 1
		.amdhsa_reserve_flat_scratch 0
		.amdhsa_float_round_mode_32 0
		.amdhsa_float_round_mode_16_64 0
		.amdhsa_float_denorm_mode_32 3
		.amdhsa_float_denorm_mode_16_64 3
		.amdhsa_dx10_clamp 1
		.amdhsa_ieee_mode 1
		.amdhsa_fp16_overflow 0
		.amdhsa_workgroup_processor_mode 1
		.amdhsa_memory_ordered 1
		.amdhsa_forward_progress 1
		.amdhsa_shared_vgpr_count 0
		.amdhsa_exception_fp_ieee_invalid_op 0
		.amdhsa_exception_fp_denorm_src 0
		.amdhsa_exception_fp_ieee_div_zero 0
		.amdhsa_exception_fp_ieee_overflow 0
		.amdhsa_exception_fp_ieee_underflow 0
		.amdhsa_exception_fp_ieee_inexact 0
		.amdhsa_exception_int_div_zero 0
	.end_amdhsa_kernel
	.text
.Lfunc_end1:
	.size	_Z15integrateStressPdS_S_PKdS1_S1_PKiS1_S1_S1_S_i, .Lfunc_end1-_Z15integrateStressPdS_S_PKdS1_S1_PKiS1_S1_S1_S_i
                                        ; -- End function
	.set _Z15integrateStressPdS_S_PKdS1_S1_PKiS1_S1_S1_S_i.num_vgpr, 126
	.set _Z15integrateStressPdS_S_PKdS1_S1_PKiS1_S1_S1_S_i.num_agpr, 0
	.set _Z15integrateStressPdS_S_PKdS1_S1_PKiS1_S1_S1_S_i.numbered_sgpr, 24
	.set _Z15integrateStressPdS_S_PKdS1_S1_PKiS1_S1_S1_S_i.num_named_barrier, 0
	.set _Z15integrateStressPdS_S_PKdS1_S1_PKiS1_S1_S1_S_i.private_seg_size, 0
	.set _Z15integrateStressPdS_S_PKdS1_S1_PKiS1_S1_S1_S_i.uses_vcc, 1
	.set _Z15integrateStressPdS_S_PKdS1_S1_PKiS1_S1_S1_S_i.uses_flat_scratch, 0
	.set _Z15integrateStressPdS_S_PKdS1_S1_PKiS1_S1_S1_S_i.has_dyn_sized_stack, 0
	.set _Z15integrateStressPdS_S_PKdS1_S1_PKiS1_S1_S1_S_i.has_recursion, 0
	.set _Z15integrateStressPdS_S_PKdS1_S1_PKiS1_S1_S1_S_i.has_indirect_call, 0
	.section	.AMDGPU.csdata,"",@progbits
; Kernel info:
; codeLenInByte = 3928
; TotalNumSgprs: 26
; NumVgprs: 126
; ScratchSize: 0
; MemoryBound: 0
; FloatMode: 240
; IeeeMode: 1
; LDSByteSize: 0 bytes/workgroup (compile time only)
; SGPRBlocks: 0
; VGPRBlocks: 15
; NumSGPRsForWavesPerEU: 26
; NumVGPRsForWavesPerEU: 126
; Occupancy: 8
; WaveLimiterHint : 1
; COMPUTE_PGM_RSRC2:SCRATCH_EN: 0
; COMPUTE_PGM_RSRC2:USER_SGPR: 6
; COMPUTE_PGM_RSRC2:TRAP_HANDLER: 0
; COMPUTE_PGM_RSRC2:TGID_X_EN: 1
; COMPUTE_PGM_RSRC2:TGID_Y_EN: 0
; COMPUTE_PGM_RSRC2:TGID_Z_EN: 0
; COMPUTE_PGM_RSRC2:TIDIG_COMP_CNT: 0
	.text
	.protected	_Z15acc_final_forcePKdS0_S0_PdS1_S1_PKiS3_i ; -- Begin function _Z15acc_final_forcePKdS0_S0_PdS1_S1_PKiS3_i
	.globl	_Z15acc_final_forcePKdS0_S0_PdS1_S1_PKiS3_i
	.p2align	8
	.type	_Z15acc_final_forcePKdS0_S0_PdS1_S1_PKiS3_i,@function
_Z15acc_final_forcePKdS0_S0_PdS1_S1_PKiS3_i: ; @_Z15acc_final_forcePKdS0_S0_PdS1_S1_PKiS3_i
; %bb.0:
	s_clause 0x1
	s_load_dword s0, s[4:5], 0x54
	s_load_dword s1, s[4:5], 0x40
	s_waitcnt lgkmcnt(0)
	s_and_b32 s0, s0, 0xffff
	v_mad_u64_u32 v[0:1], null, s6, s0, v[0:1]
	s_mov_b32 s0, exec_lo
	v_cmpx_gt_i32_e64 s1, v0
	s_cbranch_execz .LBB2_6
; %bb.1:
	s_load_dwordx8 s[8:15], s[4:5], 0x18
	v_ashrrev_i32_e32 v1, 31, v0
	v_mov_b32_e32 v4, 0
	v_mov_b32_e32 v6, 0
	;; [unrolled: 1-line block ×4, first 2 shown]
	v_lshlrev_b64 v[2:3], 2, v[0:1]
	s_mov_b32 s6, 0
	s_mov_b32 s1, exec_lo
	s_waitcnt lgkmcnt(0)
	v_add_co_u32 v2, vcc_lo, s14, v2
	v_add_co_ci_u32_e64 v3, null, s15, v3, vcc_lo
	global_load_dwordx2 v[8:9], v[2:3], off
	v_mov_b32_e32 v2, 0
	v_mov_b32_e32 v3, 0
	s_waitcnt vmcnt(0)
	v_sub_nc_u32_e32 v10, v9, v8
	v_cmpx_lt_i32_e32 0, v10
	s_cbranch_execz .LBB2_5
; %bb.2:
	s_clause 0x2
	s_load_dwordx2 s[14:15], s[4:5], 0x38
	s_load_dwordx4 s[16:19], s[4:5], 0x0
	s_load_dwordx2 s[2:3], s[4:5], 0x10
	v_ashrrev_i32_e32 v9, 31, v8
	v_mov_b32_e32 v2, 0
	v_mov_b32_e32 v4, 0
	;; [unrolled: 1-line block ×4, first 2 shown]
	v_lshlrev_b64 v[8:9], 2, v[8:9]
	v_mov_b32_e32 v5, 0
	v_mov_b32_e32 v7, 0
	s_mov_b32 s4, 0
	s_waitcnt lgkmcnt(0)
	v_add_co_u32 v8, vcc_lo, s14, v8
	v_add_co_ci_u32_e64 v9, null, s15, v9, vcc_lo
	s_inst_prefetch 0x1
	.p2align	6
.LBB2_3:                                ; =>This Inner Loop Header: Depth=1
	global_load_dword v11, v[8:9], off
	s_add_i32 s4, s4, 1
	v_add_co_u32 v8, s0, v8, 4
	v_add_co_ci_u32_e64 v9, null, 0, v9, s0
	s_waitcnt vmcnt(0)
	v_ashrrev_i32_e32 v12, 31, v11
	v_lshlrev_b64 v[11:12], 3, v[11:12]
	v_add_co_u32 v13, vcc_lo, s16, v11
	v_add_co_ci_u32_e64 v14, null, s17, v12, vcc_lo
	v_add_co_u32 v15, vcc_lo, s18, v11
	v_add_co_ci_u32_e64 v16, null, s19, v12, vcc_lo
	v_add_co_u32 v11, vcc_lo, s2, v11
	v_add_co_ci_u32_e64 v12, null, s3, v12, vcc_lo
	global_load_dwordx2 v[13:14], v[13:14], off
	global_load_dwordx2 v[15:16], v[15:16], off
	;; [unrolled: 1-line block ×3, first 2 shown]
	v_cmp_ge_i32_e32 vcc_lo, s4, v10
	s_or_b32 s6, vcc_lo, s6
	s_waitcnt vmcnt(2)
	v_add_f64 v[6:7], v[6:7], v[13:14]
	s_waitcnt vmcnt(1)
	v_add_f64 v[4:5], v[4:5], v[15:16]
	;; [unrolled: 2-line block ×3, first 2 shown]
	s_andn2_b32 exec_lo, exec_lo, s6
	s_cbranch_execnz .LBB2_3
; %bb.4:
	s_inst_prefetch 0x2
	s_or_b32 exec_lo, exec_lo, s6
.LBB2_5:
	s_or_b32 exec_lo, exec_lo, s1
	v_lshlrev_b64 v[0:1], 3, v[0:1]
	v_add_co_u32 v8, vcc_lo, s8, v0
	v_add_co_ci_u32_e64 v9, null, s9, v1, vcc_lo
	v_add_co_u32 v10, vcc_lo, s10, v0
	v_add_co_ci_u32_e64 v11, null, s11, v1, vcc_lo
	;; [unrolled: 2-line block ×3, first 2 shown]
	global_store_dwordx2 v[8:9], v[6:7], off
	global_store_dwordx2 v[10:11], v[4:5], off
	;; [unrolled: 1-line block ×3, first 2 shown]
.LBB2_6:
	s_endpgm
	.section	.rodata,"a",@progbits
	.p2align	6, 0x0
	.amdhsa_kernel _Z15acc_final_forcePKdS0_S0_PdS1_S1_PKiS3_i
		.amdhsa_group_segment_fixed_size 0
		.amdhsa_private_segment_fixed_size 0
		.amdhsa_kernarg_size 328
		.amdhsa_user_sgpr_count 6
		.amdhsa_user_sgpr_private_segment_buffer 1
		.amdhsa_user_sgpr_dispatch_ptr 0
		.amdhsa_user_sgpr_queue_ptr 0
		.amdhsa_user_sgpr_kernarg_segment_ptr 1
		.amdhsa_user_sgpr_dispatch_id 0
		.amdhsa_user_sgpr_flat_scratch_init 0
		.amdhsa_user_sgpr_private_segment_size 0
		.amdhsa_wavefront_size32 1
		.amdhsa_uses_dynamic_stack 0
		.amdhsa_system_sgpr_private_segment_wavefront_offset 0
		.amdhsa_system_sgpr_workgroup_id_x 1
		.amdhsa_system_sgpr_workgroup_id_y 0
		.amdhsa_system_sgpr_workgroup_id_z 0
		.amdhsa_system_sgpr_workgroup_info 0
		.amdhsa_system_vgpr_workitem_id 0
		.amdhsa_next_free_vgpr 17
		.amdhsa_next_free_sgpr 20
		.amdhsa_reserve_vcc 1
		.amdhsa_reserve_flat_scratch 0
		.amdhsa_float_round_mode_32 0
		.amdhsa_float_round_mode_16_64 0
		.amdhsa_float_denorm_mode_32 3
		.amdhsa_float_denorm_mode_16_64 3
		.amdhsa_dx10_clamp 1
		.amdhsa_ieee_mode 1
		.amdhsa_fp16_overflow 0
		.amdhsa_workgroup_processor_mode 1
		.amdhsa_memory_ordered 1
		.amdhsa_forward_progress 1
		.amdhsa_shared_vgpr_count 0
		.amdhsa_exception_fp_ieee_invalid_op 0
		.amdhsa_exception_fp_denorm_src 0
		.amdhsa_exception_fp_ieee_div_zero 0
		.amdhsa_exception_fp_ieee_overflow 0
		.amdhsa_exception_fp_ieee_underflow 0
		.amdhsa_exception_fp_ieee_inexact 0
		.amdhsa_exception_int_div_zero 0
	.end_amdhsa_kernel
	.text
.Lfunc_end2:
	.size	_Z15acc_final_forcePKdS0_S0_PdS1_S1_PKiS3_i, .Lfunc_end2-_Z15acc_final_forcePKdS0_S0_PdS1_S1_PKiS3_i
                                        ; -- End function
	.set _Z15acc_final_forcePKdS0_S0_PdS1_S1_PKiS3_i.num_vgpr, 17
	.set _Z15acc_final_forcePKdS0_S0_PdS1_S1_PKiS3_i.num_agpr, 0
	.set _Z15acc_final_forcePKdS0_S0_PdS1_S1_PKiS3_i.numbered_sgpr, 20
	.set _Z15acc_final_forcePKdS0_S0_PdS1_S1_PKiS3_i.num_named_barrier, 0
	.set _Z15acc_final_forcePKdS0_S0_PdS1_S1_PKiS3_i.private_seg_size, 0
	.set _Z15acc_final_forcePKdS0_S0_PdS1_S1_PKiS3_i.uses_vcc, 1
	.set _Z15acc_final_forcePKdS0_S0_PdS1_S1_PKiS3_i.uses_flat_scratch, 0
	.set _Z15acc_final_forcePKdS0_S0_PdS1_S1_PKiS3_i.has_dyn_sized_stack, 0
	.set _Z15acc_final_forcePKdS0_S0_PdS1_S1_PKiS3_i.has_recursion, 0
	.set _Z15acc_final_forcePKdS0_S0_PdS1_S1_PKiS3_i.has_indirect_call, 0
	.section	.AMDGPU.csdata,"",@progbits
; Kernel info:
; codeLenInByte = 520
; TotalNumSgprs: 22
; NumVgprs: 17
; ScratchSize: 0
; MemoryBound: 0
; FloatMode: 240
; IeeeMode: 1
; LDSByteSize: 0 bytes/workgroup (compile time only)
; SGPRBlocks: 0
; VGPRBlocks: 2
; NumSGPRsForWavesPerEU: 22
; NumVGPRsForWavesPerEU: 17
; Occupancy: 16
; WaveLimiterHint : 1
; COMPUTE_PGM_RSRC2:SCRATCH_EN: 0
; COMPUTE_PGM_RSRC2:USER_SGPR: 6
; COMPUTE_PGM_RSRC2:TRAP_HANDLER: 0
; COMPUTE_PGM_RSRC2:TGID_X_EN: 1
; COMPUTE_PGM_RSRC2:TGID_Y_EN: 0
; COMPUTE_PGM_RSRC2:TGID_Z_EN: 0
; COMPUTE_PGM_RSRC2:TIDIG_COMP_CNT: 0
	.text
	.protected	_Z3hgcPdS_S_S_S_S_S_PKdS1_S1_PKiS1_S1_Pii ; -- Begin function _Z3hgcPdS_S_S_S_S_S_PKdS1_S1_PKiS1_S1_Pii
	.globl	_Z3hgcPdS_S_S_S_S_S_PKdS1_S1_PKiS1_S1_Pii
	.p2align	8
	.type	_Z3hgcPdS_S_S_S_S_S_PKdS1_S1_PKiS1_S1_Pii,@function
_Z3hgcPdS_S_S_S_S_S_PKdS1_S1_PKiS1_S1_Pii: ; @_Z3hgcPdS_S_S_S_S_S_PKdS1_S1_PKiS1_S1_Pii
; %bb.0:
	s_clause 0x1
	s_load_dword s0, s[4:5], 0x84
	s_load_dword s1, s[4:5], 0x70
	s_waitcnt lgkmcnt(0)
	s_and_b32 s0, s0, 0xffff
	v_mad_u64_u32 v[48:49], null, s6, s0, v[0:1]
	s_mov_b32 s0, exec_lo
	v_cmpx_gt_i32_e64 s1, v48
	s_cbranch_execz .LBB3_3
; %bb.1:
	s_load_dwordx8 s[16:23], s[4:5], 0x40
	v_lshlrev_b32_e32 v49, 3, v48
	s_clause 0x2
	s_load_dwordx8 s[8:15], s[4:5], 0x20
	s_load_dwordx8 s[24:31], s[4:5], 0x0
	s_load_dwordx2 s[0:1], s[4:5], 0x60
	v_ashrrev_i32_e32 v50, 31, v49
	v_lshlrev_b64 v[0:1], 2, v[49:50]
	s_waitcnt lgkmcnt(0)
	v_add_co_u32 v4, vcc_lo, s20, v0
	v_add_co_ci_u32_e64 v5, null, s21, v1, vcc_lo
	s_clause 0x1
	global_load_dwordx4 v[0:3], v[4:5], off
	global_load_dwordx4 v[4:7], v[4:5], off offset:16
	s_waitcnt vmcnt(1)
	v_ashrrev_i32_e32 v9, 31, v0
	v_mov_b32_e32 v8, v0
	v_ashrrev_i32_e32 v11, 31, v1
	v_mov_b32_e32 v10, v1
	;; [unrolled: 2-line block ×3, first 2 shown]
	v_lshlrev_b64 v[8:9], 3, v[8:9]
	v_ashrrev_i32_e32 v13, 31, v3
	v_mov_b32_e32 v12, v3
	v_lshlrev_b64 v[10:11], 3, v[10:11]
	s_waitcnt vmcnt(0)
	v_ashrrev_i32_e32 v3, 31, v4
	v_mov_b32_e32 v2, v4
	v_ashrrev_i32_e32 v15, 31, v5
	v_mov_b32_e32 v14, v5
	;; [unrolled: 2-line block ×3, first 2 shown]
	v_lshlrev_b64 v[18:19], 3, v[0:1]
	v_lshlrev_b64 v[12:13], 3, v[12:13]
	v_add_co_u32 v0, vcc_lo, s16, v8
	v_lshlrev_b64 v[24:25], 3, v[2:3]
	v_lshlrev_b64 v[26:27], 3, v[14:15]
	v_lshlrev_b64 v[14:15], 3, v[4:5]
	v_add_co_ci_u32_e64 v1, null, s17, v9, vcc_lo
	v_add_co_u32 v4, vcc_lo, s16, v10
	v_ashrrev_i32_e32 v17, 31, v7
	v_mov_b32_e32 v16, v7
	v_add_co_ci_u32_e64 v5, null, s17, v11, vcc_lo
	v_add_co_u32 v6, vcc_lo, s16, v18
	v_add_co_ci_u32_e64 v7, null, s17, v19, vcc_lo
	v_add_co_u32 v28, vcc_lo, s16, v12
	v_lshlrev_b64 v[16:17], 3, v[16:17]
	v_add_co_ci_u32_e64 v29, null, s17, v13, vcc_lo
	v_add_co_u32 v30, vcc_lo, s16, v24
	v_add_co_ci_u32_e64 v31, null, s17, v25, vcc_lo
	v_add_co_u32 v2, vcc_lo, s16, v26
	;; [unrolled: 2-line block ×9, first 2 shown]
	v_add_co_ci_u32_e64 v56, null, s19, v25, vcc_lo
	s_clause 0x7
	global_load_dwordx2 v[2:3], v[2:3], off
	global_load_dwordx2 v[22:23], v[4:5], off
	;; [unrolled: 1-line block ×8, first 2 shown]
	v_add_co_u32 v30, vcc_lo, s18, v26
	v_add_co_ci_u32_e64 v31, null, s19, v27, vcc_lo
	v_add_co_u32 v57, vcc_lo, s18, v16
	v_add_co_ci_u32_e64 v58, null, s19, v17, vcc_lo
	s_clause 0x4
	global_load_dwordx2 v[40:41], v[36:37], off
	global_load_dwordx2 v[42:43], v[38:39], off
	global_load_dwordx2 v[28:29], v[51:52], off
	global_load_dwordx2 v[32:33], v[55:56], off
	global_load_dwordx2 v[34:35], v[30:31], off
	v_add_co_u32 v36, vcc_lo, s18, v14
	v_add_co_ci_u32_e64 v37, null, s19, v15, vcc_lo
	v_add_co_u32 v8, vcc_lo, s14, v8
	v_add_co_ci_u32_e64 v9, null, s15, v9, vcc_lo
	;; [unrolled: 2-line block ×3, first 2 shown]
	v_add_co_u32 v51, vcc_lo, s14, v18
	s_clause 0x2
	global_load_dwordx2 v[30:31], v[53:54], off
	global_load_dwordx2 v[38:39], v[57:58], off
	;; [unrolled: 1-line block ×3, first 2 shown]
	v_add_co_ci_u32_e64 v52, null, s15, v19, vcc_lo
	v_add_co_u32 v53, vcc_lo, s14, v12
	v_add_co_ci_u32_e64 v54, null, s15, v13, vcc_lo
	v_add_co_u32 v24, vcc_lo, s14, v24
	;; [unrolled: 2-line block ×4, first 2 shown]
	v_add_co_ci_u32_e64 v56, null, s15, v17, vcc_lo
	s_clause 0x4
	global_load_dwordx2 v[16:17], v[8:9], off
	global_load_dwordx2 v[18:19], v[10:11], off
	;; [unrolled: 1-line block ×5, first 2 shown]
	v_add_co_u32 v24, vcc_lo, s14, v14
	v_add_co_ci_u32_e64 v25, null, s15, v15, vcc_lo
	s_clause 0x2
	global_load_dwordx2 v[14:15], v[53:54], off
	global_load_dwordx2 v[26:27], v[55:56], off
	;; [unrolled: 1-line block ×3, first 2 shown]
	v_lshlrev_b64 v[50:51], 3, v[49:50]
	v_ashrrev_i32_e32 v49, 31, v48
	v_add_co_u32 v72, vcc_lo, s8, v50
	v_add_co_ci_u32_e64 v73, null, s9, v51, vcc_lo
	v_add_co_u32 v74, vcc_lo, s10, v50
	v_add_co_ci_u32_e64 v75, null, s11, v51, vcc_lo
	s_waitcnt vmcnt(22)
	v_add_f64 v[70:71], v[22:23], v[2:3]
	s_waitcnt vmcnt(21)
	v_add_f64 v[52:53], v[22:23], v[44:45]
	;; [unrolled: 2-line block ×3, first 2 shown]
	global_store_dwordx4 v[72:73], v[20:23], off
	s_waitcnt vmcnt(18)
	v_add_f64 v[22:23], v[20:21], v[0:1]
	v_add_f64 v[20:21], v[20:21], v[46:47]
	global_store_dwordx4 v[72:73], v[44:47], off offset:16
	v_add_f64 v[54:55], v[44:45], v[46:47]
	s_waitcnt vmcnt(16)
	v_add_f64 v[46:47], v[46:47], v[6:7]
	v_add_f64 v[44:45], v[44:45], v[4:5]
	global_store_dwordx4 v[72:73], v[0:3], off offset:32
	global_store_dwordx4 v[72:73], v[4:7], off offset:48
	s_waitcnt vmcnt(14)
	v_add_f64 v[68:69], v[40:41], v[42:43]
	global_store_dwordx4 v[74:75], v[40:43], off
	s_waitcnt vmcnt(13)
	v_add_f64 v[64:65], v[42:43], v[28:29]
	s_waitcnt vmcnt(11)
	v_add_f64 v[76:77], v[42:43], v[34:35]
	v_add_f64 v[42:43], v[40:41], v[32:33]
	global_store_dwordx4 v[74:75], v[32:35], off offset:32
	s_waitcnt vmcnt(10)
	v_add_f64 v[40:41], v[40:41], v[30:31]
	global_store_dwordx4 v[74:75], v[28:31], off offset:16
	v_add_f64 v[62:63], v[28:29], v[30:31]
	s_waitcnt vmcnt(9)
	v_add_f64 v[56:57], v[30:31], v[38:39]
	s_waitcnt vmcnt(8)
	v_add_f64 v[58:59], v[28:29], v[36:37]
	v_add_f64 v[30:31], v[32:33], v[34:35]
	v_add_f64 v[78:79], v[34:35], v[36:37]
	global_store_dwordx4 v[74:75], v[36:39], off offset:48
	v_add_f64 v[34:35], v[36:37], v[38:39]
	v_add_co_u32 v36, vcc_lo, s30, v50
	v_add_co_ci_u32_e64 v37, null, s31, v51, vcc_lo
	v_add_f64 v[66:67], v[32:33], v[38:39]
	v_add_f64 v[28:29], v[0:1], v[2:3]
	;; [unrolled: 1-line block ×5, first 2 shown]
	s_waitcnt vmcnt(6)
	global_store_dwordx4 v[36:37], v[16:19], off
	s_waitcnt vmcnt(5)
	v_add_f64 v[32:33], v[18:19], v[12:13]
	v_add_f64 v[82:83], v[16:17], v[18:19]
	s_waitcnt vmcnt(3)
	global_store_dwordx4 v[36:37], v[8:11], off offset:32
	v_add_f64 v[80:81], v[18:19], v[10:11]
	v_add_f64 v[4:5], v[16:17], v[8:9]
	s_waitcnt vmcnt(2)
	global_store_dwordx4 v[36:37], v[12:15], off offset:16
	v_add_f64 v[6:7], v[16:17], v[14:15]
	s_waitcnt vmcnt(0)
	global_store_dwordx4 v[36:37], v[24:27], off offset:48
	v_mul_f64 v[36:37], v[20:21], v[68:69]
	v_add_f64 v[16:17], v[12:13], v[14:15]
	v_add_f64 v[18:19], v[12:13], v[24:25]
	;; [unrolled: 1-line block ×7, first 2 shown]
	v_mul_f64 v[88:89], v[28:29], v[66:67]
	v_mul_f64 v[24:25], v[52:53], v[62:63]
	;; [unrolled: 1-line block ×6, first 2 shown]
	v_fma_f64 v[36:37], v[60:61], v[40:41], -v[36:37]
	v_mul_f64 v[100:101], v[16:17], v[20:21]
	v_mul_f64 v[90:91], v[12:13], v[0:1]
	;; [unrolled: 1-line block ×5, first 2 shown]
	v_fma_f64 v[88:89], v[0:1], v[30:31], -v[88:89]
	v_fma_f64 v[24:25], v[54:55], v[64:65], -v[24:25]
	;; [unrolled: 1-line block ×6, first 2 shown]
	v_fma_f64 v[36:37], v[46:47], v[34:35], v[36:37]
	v_fma_f64 v[100:101], v[6:7], v[54:55], -v[100:101]
	v_fma_f64 v[90:91], v[8:9], v[28:29], -v[90:91]
	;; [unrolled: 1-line block ×5, first 2 shown]
	v_fma_f64 v[24:25], v[70:71], v[30:31], v[24:25]
	v_fma_f64 v[84:85], v[46:47], v[40:41], v[84:85]
	v_fma_f64 v[92:93], -v[12:13], v[70:71], v[26:27]
	v_fma_f64 v[26:27], v[70:71], v[64:65], v[88:89]
	v_fma_f64 v[72:73], -v[10:11], v[46:47], v[72:73]
	v_fma_f64 v[36:37], -v[2:3], v[56:57], v[36:37]
	;; [unrolled: 1-line block ×8, first 2 shown]
	v_fma_f64 v[72:73], v[14:15], v[2:3], v[72:73]
	v_fma_f64 v[90:91], -v[70:71], v[78:79], v[36:37]
	v_mul_f64 v[36:37], v[82:83], v[40:41]
	v_fma_f64 v[86:87], v[14:15], v[20:21], v[86:87]
	v_fma_f64 v[108:109], v[4:5], v[60:61], v[108:109]
	v_fma_f64 v[84:85], -v[70:71], v[68:69], v[84:85]
	v_fma_f64 v[94:95], v[74:75], v[70:71], v[72:73]
	v_mul_f64 v[72:73], v[6:7], v[62:63]
	v_fma_f64 v[36:37], v[6:7], v[68:69], -v[36:37]
	v_fma_f64 v[86:87], v[82:83], v[70:71], v[86:87]
	v_mul_f64 v[70:71], v[54:55], v[40:41]
	v_fma_f64 v[26:27], v[60:61], v[76:77], v[84:85]
	v_mul_f64 v[84:85], v[10:11], v[66:67]
	v_fma_f64 v[72:73], v[16:17], v[40:41], -v[72:73]
	v_fma_f64 v[36:37], -v[14:15], v[34:35], v[36:37]
	v_fma_f64 v[70:71], v[20:21], v[62:63], -v[70:71]
	v_fma_f64 v[84:85], v[8:9], v[34:35], -v[84:85]
	v_fma_f64 v[72:73], -v[18:19], v[78:79], v[72:73]
	v_fma_f64 v[36:37], v[10:11], v[56:57], v[36:37]
	v_fma_f64 v[70:71], v[44:45], v[78:79], v[70:71]
	v_fma_f64 v[84:85], -v[4:5], v[68:69], v[84:85]
	v_fma_f64 v[72:73], v[74:75], v[58:59], v[72:73]
	v_fma_f64 v[36:37], v[80:81], v[78:79], v[36:37]
	v_mul_f64 v[78:79], v[12:13], v[78:79]
	v_fma_f64 v[84:85], v[82:83], v[42:43], v[84:85]
	v_fma_f64 v[36:37], -v[74:75], v[76:77], v[36:37]
	v_fma_f64 v[102:103], v[74:75], v[30:31], -v[78:79]
	v_mul_f64 v[74:75], v[74:75], v[28:29]
	v_fma_f64 v[78:79], -v[38:39], v[58:59], v[70:71]
	v_fma_f64 v[70:71], v[38:39], v[76:77], v[90:91]
	v_mul_f64 v[90:91], v[16:17], v[64:65]
	v_fma_f64 v[104:105], v[12:13], v[38:39], -v[74:75]
	v_fma_f64 v[74:75], v[18:19], v[38:39], v[100:101]
	v_fma_f64 v[38:39], -v[80:81], v[38:39], v[94:95]
	v_fma_f64 v[94:95], -v[14:15], v[40:41], v[96:97]
	v_mul_f64 v[96:97], v[8:9], v[30:31]
	v_fma_f64 v[90:91], v[32:33], v[62:63], -v[90:91]
	v_fma_f64 v[100:101], -v[28:29], v[76:77], v[24:25]
	v_fma_f64 v[94:95], v[6:7], v[56:57], v[94:95]
	v_fma_f64 v[96:97], v[12:13], v[66:67], -v[96:97]
	v_fma_f64 v[90:91], -v[80:81], v[30:31], v[90:91]
	v_fma_f64 v[94:95], v[80:81], v[68:69], v[94:95]
	v_fma_f64 v[96:97], -v[80:81], v[64:65], v[96:97]
	v_fma_f64 v[90:91], v[12:13], v[76:77], v[90:91]
	;; [unrolled: 2-line block ×3, first 2 shown]
	v_mul_f64 v[76:77], v[0:1], v[34:35]
	v_mul_f64 v[94:95], v[60:61], v[64:65]
	v_fma_f64 v[76:77], v[2:3], v[66:67], -v[76:77]
	v_fma_f64 v[94:95], v[52:53], v[68:69], -v[94:95]
	v_fma_f64 v[76:77], v[22:23], v[68:69], v[76:77]
	v_mul_f64 v[68:69], v[32:33], v[68:69]
	v_fma_f64 v[76:77], -v[60:61], v[42:43], v[76:77]
	v_fma_f64 v[68:69], v[82:83], v[64:65], -v[68:69]
	v_mul_f64 v[82:83], v[82:83], v[52:53]
	v_fma_f64 v[68:69], -v[4:5], v[66:67], v[68:69]
	v_fma_f64 v[82:83], v[32:33], v[60:61], -v[82:83]
	v_fma_f64 v[60:61], -v[80:81], v[60:61], v[86:87]
	v_fma_f64 v[86:87], v[80:81], v[28:29], v[92:93]
	v_fma_f64 v[80:81], v[80:81], v[52:53], v[88:89]
	;; [unrolled: 1-line block ×3, first 2 shown]
	v_fma_f64 v[92:93], -v[46:47], v[66:67], v[100:101]
	v_fma_f64 v[66:67], v[14:15], v[66:67], v[90:91]
	v_fma_f64 v[90:91], -v[18:19], v[62:63], v[102:103]
	v_fma_f64 v[94:95], -v[46:47], v[62:63], v[106:107]
	v_fma_f64 v[68:69], v[8:9], v[42:43], v[68:69]
	v_fma_f64 v[86:87], v[8:9], v[46:47], v[86:87]
	;; [unrolled: 1-line block ×3, first 2 shown]
	v_fma_f64 v[88:89], -v[0:1], v[42:43], v[88:89]
	v_fma_f64 v[46:47], -v[14:15], v[54:55], v[46:47]
	;; [unrolled: 1-line block ×3, first 2 shown]
	v_fma_f64 v[34:35], v[18:19], v[34:35], v[68:69]
	v_fma_f64 v[68:69], -v[44:45], v[64:65], v[76:77]
	v_fma_f64 v[76:77], -v[8:9], v[22:23], v[82:83]
	v_fma_f64 v[82:83], v[44:45], v[62:63], v[98:99]
	v_fma_f64 v[64:65], v[18:19], v[64:65], v[84:85]
	v_fma_f64 v[84:85], -v[16:17], v[44:45], v[104:105]
	v_fma_f64 v[62:63], v[14:15], v[62:63], v[96:97]
	v_fma_f64 v[76:77], v[4:5], v[0:1], v[76:77]
	;; [unrolled: 3-line block ×3, first 2 shown]
	v_fma_f64 v[10:11], -v[10:11], v[58:59], v[34:35]
	v_fma_f64 v[34:35], v[2:3], v[58:59], v[88:89]
	v_fma_f64 v[32:33], -v[32:33], v[58:59], v[64:65]
	v_fma_f64 v[64:65], v[16:17], v[58:59], v[90:91]
	v_fma_f64 v[16:17], v[12:13], v[22:23], v[74:75]
	v_fma_f64 v[76:77], -v[18:19], v[2:3], v[76:77]
	v_fma_f64 v[2:3], -v[54:55], v[58:59], v[82:83]
	v_fma_f64 v[58:59], v[52:53], v[58:59], v[68:69]
	v_fma_f64 v[44:45], -v[18:19], v[52:53], v[44:45]
	v_fma_f64 v[52:53], -v[8:9], v[56:57], v[66:67]
	;; [unrolled: 3-line block ×3, first 2 shown]
	v_fma_f64 v[14:15], v[4:5], v[40:41], v[64:65]
	v_lshlrev_b64 v[64:65], 3, v[48:49]
	v_fma_f64 v[8:9], v[4:5], v[30:31], v[72:73]
	v_fma_f64 v[18:19], v[18:19], v[54:55], v[84:85]
	;; [unrolled: 1-line block ×3, first 2 shown]
	v_fma_f64 v[2:3], -v[22:23], v[40:41], v[2:3]
	v_fma_f64 v[30:31], v[28:29], v[42:43], v[0:1]
	v_add_co_u32 v0, vcc_lo, s22, v64
	v_add_co_ci_u32_e64 v1, null, s23, v65, vcc_lo
	v_fma_f64 v[18:19], v[6:7], v[22:23], v[18:19]
	v_fma_f64 v[22:23], -v[12:13], v[42:43], v[8:9]
	v_fma_f64 v[28:29], -v[4:5], v[28:29], v[16:17]
	;; [unrolled: 1-line block ×3, first 2 shown]
	v_fma_f64 v[40:41], v[20:21], v[42:43], v[2:3]
	v_add_co_u32 v2, vcc_lo, s0, v64
	v_add_co_ci_u32_e64 v3, null, s1, v65, vcc_lo
	global_load_dwordx2 v[0:1], v[0:1], off
	global_load_dwordx2 v[2:3], v[2:3], off
	s_mov_b32 s0, 0x55555555
	s_mov_b32 s1, 0x3fb55555
	v_add_co_u32 v74, vcc_lo, s24, v50
	v_fma_f64 v[72:73], -v[4:5], v[20:21], v[18:19]
	v_add_co_ci_u32_e64 v75, null, s25, v51, vcc_lo
	v_mul_f64 v[12:13], v[66:67], s[0:1]
	v_mul_f64 v[14:15], v[30:31], s[0:1]
	;; [unrolled: 1-line block ×21, first 2 shown]
	s_waitcnt vmcnt(0)
	v_cmp_ge_f64_e32 vcc_lo, 0, v[2:3]
	v_mul_f64 v[78:79], v[0:1], v[2:3]
	v_mul_f64 v[2:3], v[34:35], s[0:1]
	;; [unrolled: 1-line block ×4, first 2 shown]
	v_add_co_u32 v24, s0, s26, v50
	v_add_co_ci_u32_e64 v25, null, s27, v51, s0
	v_add_co_u32 v46, s0, s28, v50
	v_add_co_ci_u32_e64 v47, null, s29, v51, s0
	;; [unrolled: 2-line block ×3, first 2 shown]
	global_store_dwordx4 v[74:75], v[12:15], off
	global_store_dwordx4 v[24:25], v[16:19], off
	;; [unrolled: 1-line block ×3, first 2 shown]
	global_store_dwordx4 v[74:75], v[0:3], off offset:16
	global_store_dwordx4 v[24:25], v[4:7], off offset:16
	;; [unrolled: 1-line block ×9, first 2 shown]
	global_store_dwordx2 v[49:50], v[78:79], off
	s_and_b32 exec_lo, exec_lo, vcc_lo
	s_cbranch_execz .LBB3_3
; %bb.2:
	s_load_dwordx2 s[0:1], s[4:5], 0x68
	v_mov_b32_e32 v0, 0
	s_waitcnt lgkmcnt(0)
	global_store_dword v0, v48, s[0:1]
.LBB3_3:
	s_endpgm
	.section	.rodata,"a",@progbits
	.p2align	6, 0x0
	.amdhsa_kernel _Z3hgcPdS_S_S_S_S_S_PKdS1_S1_PKiS1_S1_Pii
		.amdhsa_group_segment_fixed_size 0
		.amdhsa_private_segment_fixed_size 0
		.amdhsa_kernarg_size 376
		.amdhsa_user_sgpr_count 6
		.amdhsa_user_sgpr_private_segment_buffer 1
		.amdhsa_user_sgpr_dispatch_ptr 0
		.amdhsa_user_sgpr_queue_ptr 0
		.amdhsa_user_sgpr_kernarg_segment_ptr 1
		.amdhsa_user_sgpr_dispatch_id 0
		.amdhsa_user_sgpr_flat_scratch_init 0
		.amdhsa_user_sgpr_private_segment_size 0
		.amdhsa_wavefront_size32 1
		.amdhsa_uses_dynamic_stack 0
		.amdhsa_system_sgpr_private_segment_wavefront_offset 0
		.amdhsa_system_sgpr_workgroup_id_x 1
		.amdhsa_system_sgpr_workgroup_id_y 0
		.amdhsa_system_sgpr_workgroup_id_z 0
		.amdhsa_system_sgpr_workgroup_info 0
		.amdhsa_system_vgpr_workitem_id 0
		.amdhsa_next_free_vgpr 110
		.amdhsa_next_free_sgpr 32
		.amdhsa_reserve_vcc 1
		.amdhsa_reserve_flat_scratch 0
		.amdhsa_float_round_mode_32 0
		.amdhsa_float_round_mode_16_64 0
		.amdhsa_float_denorm_mode_32 3
		.amdhsa_float_denorm_mode_16_64 3
		.amdhsa_dx10_clamp 1
		.amdhsa_ieee_mode 1
		.amdhsa_fp16_overflow 0
		.amdhsa_workgroup_processor_mode 1
		.amdhsa_memory_ordered 1
		.amdhsa_forward_progress 1
		.amdhsa_shared_vgpr_count 0
		.amdhsa_exception_fp_ieee_invalid_op 0
		.amdhsa_exception_fp_denorm_src 0
		.amdhsa_exception_fp_ieee_div_zero 0
		.amdhsa_exception_fp_ieee_overflow 0
		.amdhsa_exception_fp_ieee_underflow 0
		.amdhsa_exception_fp_ieee_inexact 0
		.amdhsa_exception_int_div_zero 0
	.end_amdhsa_kernel
	.text
.Lfunc_end3:
	.size	_Z3hgcPdS_S_S_S_S_S_PKdS1_S1_PKiS1_S1_Pii, .Lfunc_end3-_Z3hgcPdS_S_S_S_S_S_PKdS1_S1_PKiS1_S1_Pii
                                        ; -- End function
	.set _Z3hgcPdS_S_S_S_S_S_PKdS1_S1_PKiS1_S1_Pii.num_vgpr, 110
	.set _Z3hgcPdS_S_S_S_S_S_PKdS1_S1_PKiS1_S1_Pii.num_agpr, 0
	.set _Z3hgcPdS_S_S_S_S_S_PKdS1_S1_PKiS1_S1_Pii.numbered_sgpr, 32
	.set _Z3hgcPdS_S_S_S_S_S_PKdS1_S1_PKiS1_S1_Pii.num_named_barrier, 0
	.set _Z3hgcPdS_S_S_S_S_S_PKdS1_S1_PKiS1_S1_Pii.private_seg_size, 0
	.set _Z3hgcPdS_S_S_S_S_S_PKdS1_S1_PKiS1_S1_Pii.uses_vcc, 1
	.set _Z3hgcPdS_S_S_S_S_S_PKdS1_S1_PKiS1_S1_Pii.uses_flat_scratch, 0
	.set _Z3hgcPdS_S_S_S_S_S_PKdS1_S1_PKiS1_S1_Pii.has_dyn_sized_stack, 0
	.set _Z3hgcPdS_S_S_S_S_S_PKdS1_S1_PKiS1_S1_Pii.has_recursion, 0
	.set _Z3hgcPdS_S_S_S_S_S_PKdS1_S1_PKiS1_S1_Pii.has_indirect_call, 0
	.section	.AMDGPU.csdata,"",@progbits
; Kernel info:
; codeLenInByte = 3024
; TotalNumSgprs: 34
; NumVgprs: 110
; ScratchSize: 0
; MemoryBound: 0
; FloatMode: 240
; IeeeMode: 1
; LDSByteSize: 0 bytes/workgroup (compile time only)
; SGPRBlocks: 0
; VGPRBlocks: 13
; NumSGPRsForWavesPerEU: 34
; NumVGPRsForWavesPerEU: 110
; Occupancy: 9
; WaveLimiterHint : 1
; COMPUTE_PGM_RSRC2:SCRATCH_EN: 0
; COMPUTE_PGM_RSRC2:USER_SGPR: 6
; COMPUTE_PGM_RSRC2:TRAP_HANDLER: 0
; COMPUTE_PGM_RSRC2:TGID_X_EN: 1
; COMPUTE_PGM_RSRC2:TGID_Y_EN: 0
; COMPUTE_PGM_RSRC2:TGID_Z_EN: 0
; COMPUTE_PGM_RSRC2:TIDIG_COMP_CNT: 0
	.text
	.protected	_Z2fbPKdS0_S0_S0_S0_S0_S0_S0_S0_S0_S0_S0_PKiS0_PdS3_S3_di ; -- Begin function _Z2fbPKdS0_S0_S0_S0_S0_S0_S0_S0_S0_S0_S0_PKiS0_PdS3_S3_di
	.globl	_Z2fbPKdS0_S0_S0_S0_S0_S0_S0_S0_S0_S0_S0_PKiS0_PdS3_S3_di
	.p2align	8
	.type	_Z2fbPKdS0_S0_S0_S0_S0_S0_S0_S0_S0_S0_S0_PKiS0_PdS3_S3_di,@function
_Z2fbPKdS0_S0_S0_S0_S0_S0_S0_S0_S0_S0_S0_PKiS0_PdS3_S3_di: ; @_Z2fbPKdS0_S0_S0_S0_S0_S0_S0_S0_S0_S0_S0_PKiS0_PdS3_S3_di
; %bb.0:
	s_clause 0x1
	s_load_dword s0, s[4:5], 0xa4
	s_load_dword s1, s[4:5], 0x90
	s_waitcnt lgkmcnt(0)
	s_and_b32 s0, s0, 0xffff
	v_mad_u64_u32 v[6:7], null, s6, s0, v[0:1]
	s_mov_b32 s0, exec_lo
	v_cmpx_gt_i32_e64 s1, v6
	s_cbranch_execz .LBB4_2
; %bb.1:
	s_load_dwordx8 s[80:87], s[4:5], 0x20
	v_ashrrev_i32_e32 v7, 31, v6
	s_clause 0x1
	s_load_dwordx8 s[20:27], s[4:5], 0x40
	s_load_dwordx4 s[88:91], s[4:5], 0x80
	s_mov_b32 s0, 0x47ae147b
	s_mov_b32 s1, 0xbf847ae1
	v_lshlrev_b64 v[2:3], 3, v[6:7]
	s_load_dwordx8 s[68:75], s[4:5], 0x0
	s_waitcnt lgkmcnt(0)
	v_add_co_u32 v0, vcc_lo, s84, v2
	v_add_co_ci_u32_e64 v1, null, s85, v3, vcc_lo
	global_load_dwordx2 v[0:1], v[0:1], off
	s_waitcnt vmcnt(0)
	v_frexp_exp_i32_f64_e32 v4, v[0:1]
	v_cvt_f32_i32_e32 v4, v4
	v_mul_f32_e32 v4, 0x3eaaaaab, v4
	v_rndne_f32_e32 v4, v4
	v_cvt_i32_f32_e32 v19, v4
	v_add_co_u32 v4, vcc_lo, s24, v2
	v_add_co_ci_u32_e64 v5, null, s25, v3, vcc_lo
	v_mul_lo_u32 v7, v19, -3
	v_add_co_u32 v2, vcc_lo, s26, v2
	global_load_dwordx2 v[4:5], v[4:5], off
	v_add_co_ci_u32_e64 v3, null, s27, v3, vcc_lo
	v_cmp_class_f64_e64 vcc_lo, v[0:1], 0x198
	s_load_dwordx8 s[24:31], s[4:5], 0x60
	v_ldexp_f64 v[7:8], |v[0:1]|, v7
	global_load_dwordx2 v[2:3], v[2:3], off
	s_waitcnt lgkmcnt(0)
	s_clause 0x2
	s_load_dwordx16 s[52:67], s[26:27], 0x0
	s_load_dwordx16 s[36:51], s[26:27], 0x40
	;; [unrolled: 1-line block ×3, first 2 shown]
	v_cvt_f32_f64_e32 v9, v[7:8]
	v_log_f32_e32 v9, v9
	v_mul_f32_e32 v9, 0x3eaaaaab, v9
	v_exp_f32_e32 v9, v9
	v_cvt_f64_f32_e32 v[9:10], v9
	v_mul_f64 v[11:12], v[9:10], v[9:10]
	v_add_f64 v[13:14], v[9:10], v[9:10]
	v_fma_f64 v[13:14], v[13:14], v[11:12], v[7:8]
	v_fma_f64 v[7:8], -v[9:10], v[11:12], v[7:8]
	v_rcp_f64_e32 v[15:16], v[13:14]
	v_fma_f64 v[17:18], -v[13:14], v[15:16], 1.0
	v_fma_f64 v[15:16], v[17:18], v[15:16], v[15:16]
	v_fma_f64 v[17:18], -v[13:14], v[15:16], 1.0
	v_fma_f64 v[11:12], v[17:18], v[15:16], v[15:16]
	v_mul_f64 v[15:16], v[7:8], v[11:12]
	v_fma_f64 v[7:8], -v[13:14], v[15:16], v[7:8]
	v_fma_f64 v[7:8], v[7:8], v[11:12], v[15:16]
	v_div_scale_f64 v[12:13], null, v[0:1], v[0:1], 1.0
	v_mul_f64 v[14:15], s[90:91], s[0:1]
	v_fma_f64 v[7:8], v[9:10], v[7:8], v[9:10]
	v_rcp_f64_e32 v[9:10], v[12:13]
	s_waitcnt vmcnt(1)
	v_mul_f64 v[4:5], v[14:15], v[4:5]
	v_ldexp_f64 v[7:8], v[7:8], v19
	s_waitcnt vmcnt(0)
	v_mul_f64 v[2:3], v[4:5], v[2:3]
	v_fma_f64 v[14:15], -v[12:13], v[9:10], 1.0
	v_bfi_b32 v5, 0x7fffffff, v8, v1
	v_cndmask_b32_e32 v4, v0, v7, vcc_lo
	v_fma_f64 v[7:8], v[9:10], v[14:15], v[9:10]
	v_cndmask_b32_e32 v5, v1, v5, vcc_lo
	v_div_scale_f64 v[18:19], vcc_lo, 1.0, v[0:1], 1.0
	v_div_scale_f64 v[20:21], null, v[4:5], v[4:5], v[2:3]
	v_fma_f64 v[9:10], -v[12:13], v[7:8], 1.0
	v_rcp_f64_e32 v[14:15], v[20:21]
	v_fma_f64 v[10:11], v[7:8], v[9:10], v[7:8]
	v_fma_f64 v[7:8], -v[20:21], v[14:15], 1.0
	v_mul_f64 v[16:17], v[18:19], v[10:11]
	v_fma_f64 v[7:8], v[14:15], v[7:8], v[14:15]
	v_div_scale_f64 v[14:15], s0, v[2:3], v[4:5], v[2:3]
	v_fma_f64 v[18:19], -v[12:13], v[16:17], v[18:19]
	v_fma_f64 v[12:13], -v[20:21], v[7:8], 1.0
	v_div_fmas_f64 v[10:11], v[18:19], v[10:11], v[16:17]
	s_mov_b32 vcc_lo, s0
	v_fma_f64 v[8:9], v[7:8], v[12:13], v[7:8]
	v_div_fixup_f64 v[0:1], v[10:11], v[0:1], 1.0
	v_mul_f64 v[12:13], v[14:15], v[8:9]
	v_fma_f64 v[14:15], -v[20:21], v[12:13], v[14:15]
	v_lshlrev_b32_e32 v20, 3, v6
	v_ashrrev_i32_e32 v21, 31, v20
	v_lshlrev_b64 v[6:7], 3, v[20:21]
	v_lshlrev_b64 v[16:17], 2, v[20:21]
	v_add_co_u32 v24, s1, s74, v6
	v_add_co_ci_u32_e64 v25, null, s75, v7, s1
	v_div_fmas_f64 v[8:9], v[14:15], v[8:9], v[12:13]
	v_add_co_u32 v26, vcc_lo, s80, v6
	global_load_dwordx4 v[20:23], v[24:25], off
	v_add_co_ci_u32_e64 v27, null, s81, v7, vcc_lo
	v_add_co_u32 v18, vcc_lo, s68, v6
	v_add_co_u32 v12, s0, s24, v16
	v_add_co_ci_u32_e64 v19, null, s69, v7, vcc_lo
	v_add_co_u32 v28, vcc_lo, s70, v6
	v_add_co_ci_u32_e64 v13, null, s25, v17, s0
	v_add_co_u32 v16, s0, s82, v6
	v_add_co_ci_u32_e64 v29, null, s71, v7, vcc_lo
	v_add_co_u32 v14, vcc_lo, s72, v6
	v_add_co_ci_u32_e64 v17, null, s83, v7, s0
	v_add_co_ci_u32_e64 v15, null, s73, v7, vcc_lo
	s_load_dwordx16 s[68:83], s[26:27], 0xc0
	v_div_fixup_f64 v[4:5], v[8:9], v[4:5], v[2:3]
	s_waitcnt vmcnt(0) lgkmcnt(0)
	v_mul_f64 v[30:31], v[22:23], s[54:55]
	v_mul_f64 v[32:33], v[22:23], s[38:39]
	;; [unrolled: 1-line block ×4, first 2 shown]
	v_fma_f64 v[30:31], v[20:21], s[52:53], v[30:31]
	v_fma_f64 v[32:33], v[20:21], s[36:37], v[32:33]
	;; [unrolled: 1-line block ×4, first 2 shown]
	global_load_dwordx4 v[20:23], v[26:27], off
	s_waitcnt vmcnt(0)
	v_mul_f64 v[38:39], s[54:55], v[22:23]
	v_mul_f64 v[40:41], s[38:39], v[22:23]
	;; [unrolled: 1-line block ×4, first 2 shown]
	v_fma_f64 v[38:39], s[52:53], v[20:21], v[38:39]
	v_fma_f64 v[40:41], s[36:37], v[20:21], v[40:41]
	v_fma_f64 v[42:43], s[4:5], v[20:21], v[42:43]
	v_fma_f64 v[44:45], s[68:69], v[20:21], v[22:23]
	global_load_dwordx4 v[20:23], v[24:25], off offset:16
	s_waitcnt vmcnt(0)
	v_fma_f64 v[30:31], v[20:21], s[56:57], v[30:31]
	v_fma_f64 v[32:33], v[20:21], s[40:41], v[32:33]
	v_fma_f64 v[34:35], v[20:21], s[8:9], v[34:35]
	v_fma_f64 v[20:21], v[20:21], s[72:73], v[36:37]
	v_fma_f64 v[30:31], v[22:23], s[58:59], v[30:31]
	v_fma_f64 v[32:33], v[22:23], s[42:43], v[32:33]
	v_fma_f64 v[34:35], v[22:23], s[10:11], v[34:35]
	v_fma_f64 v[36:37], v[22:23], s[74:75], v[20:21]
	global_load_dwordx4 v[20:23], v[26:27], off offset:16
	s_waitcnt vmcnt(0)
	v_fma_f64 v[38:39], s[56:57], v[20:21], v[38:39]
	v_fma_f64 v[40:41], s[40:41], v[20:21], v[40:41]
	v_fma_f64 v[42:43], s[8:9], v[20:21], v[42:43]
	v_fma_f64 v[20:21], s[72:73], v[20:21], v[44:45]
	;; [unrolled: 10-line block ×6, first 2 shown]
	v_fma_f64 v[26:27], s[66:67], v[22:23], v[26:27]
	v_fma_f64 v[36:37], s[50:51], v[22:23], v[36:37]
	;; [unrolled: 1-line block ×4, first 2 shown]
	global_load_dwordx4 v[20:23], v[28:29], off
	s_waitcnt vmcnt(0)
	v_mul_f64 v[42:43], v[26:27], v[20:21]
	v_mul_f64 v[44:45], v[26:27], v[22:23]
	v_mul_f64 v[46:47], v[36:37], v[20:21]
	v_mul_f64 v[48:49], v[36:37], v[22:23]
	v_mul_f64 v[50:51], v[38:39], v[20:21]
	v_mul_f64 v[52:53], v[38:39], v[22:23]
	v_mul_f64 v[54:55], v[40:41], v[20:21]
	v_mul_f64 v[56:57], v[40:41], v[22:23]
	global_load_dwordx4 v[20:23], v[28:29], off offset:16
	s_waitcnt vmcnt(0)
	v_mul_f64 v[58:59], v[26:27], v[20:21]
	v_mul_f64 v[60:61], v[26:27], v[22:23]
	v_mul_f64 v[62:63], v[36:37], v[20:21]
	v_mul_f64 v[64:65], v[36:37], v[22:23]
	v_mul_f64 v[66:67], v[38:39], v[20:21]
	v_mul_f64 v[68:69], v[38:39], v[22:23]
	v_mul_f64 v[70:71], v[40:41], v[20:21]
	v_mul_f64 v[72:73], v[40:41], v[22:23]
	global_load_dwordx4 v[20:23], v[28:29], off offset:32
	;; [unrolled: 10-line block ×3, first 2 shown]
	s_waitcnt vmcnt(0)
	v_mul_f64 v[28:29], v[26:27], v[20:21]
	v_mul_f64 v[26:27], v[26:27], v[22:23]
	;; [unrolled: 1-line block ×8, first 2 shown]
	global_load_dwordx4 v[20:23], v[18:19], off
	s_waitcnt vmcnt(0)
	v_fma_f64 v[42:43], v[24:25], v[20:21], v[42:43]
	v_fma_f64 v[44:45], v[24:25], v[22:23], v[44:45]
	v_fma_f64 v[46:47], v[30:31], v[20:21], v[46:47]
	v_fma_f64 v[48:49], v[30:31], v[22:23], v[48:49]
	v_fma_f64 v[50:51], v[32:33], v[20:21], v[50:51]
	v_fma_f64 v[52:53], v[32:33], v[22:23], v[52:53]
	v_fma_f64 v[54:55], v[34:35], v[20:21], v[54:55]
	v_fma_f64 v[56:57], v[34:35], v[22:23], v[56:57]
	global_load_dwordx4 v[20:23], v[18:19], off offset:16
	s_waitcnt vmcnt(0)
	v_fma_f64 v[58:59], v[24:25], v[20:21], v[58:59]
	v_fma_f64 v[60:61], v[24:25], v[22:23], v[60:61]
	;; [unrolled: 1-line block ×8, first 2 shown]
	global_load_dwordx4 v[20:23], v[18:19], off offset:32
	s_waitcnt vmcnt(0)
	v_fma_f64 v[74:75], v[24:25], v[20:21], v[74:75]
	v_fma_f64 v[78:79], v[30:31], v[20:21], v[78:79]
	;; [unrolled: 1-line block ×4, first 2 shown]
	global_load_dwordx4 v[18:21], v[18:19], off offset:48
	v_fma_f64 v[76:77], v[24:25], v[22:23], v[76:77]
	v_fma_f64 v[80:81], v[30:31], v[22:23], v[80:81]
	v_fma_f64 v[84:85], v[32:33], v[22:23], v[84:85]
	v_fma_f64 v[22:23], v[34:35], v[22:23], v[88:89]
	s_waitcnt vmcnt(0)
	v_fma_f64 v[28:29], v[24:25], v[18:19], v[28:29]
	v_fma_f64 v[24:25], v[24:25], v[20:21], v[26:27]
	;; [unrolled: 1-line block ×8, first 2 shown]
	global_load_dwordx4 v[18:21], v[16:17], off
	s_waitcnt vmcnt(0)
	v_mul_f64 v[40:41], s[54:55], v[20:21]
	v_mul_f64 v[88:89], s[38:39], v[20:21]
	;; [unrolled: 1-line block ×4, first 2 shown]
	v_fma_f64 v[40:41], s[52:53], v[18:19], v[40:41]
	v_fma_f64 v[88:89], s[36:37], v[18:19], v[88:89]
	v_fma_f64 v[90:91], s[4:5], v[18:19], v[90:91]
	v_fma_f64 v[92:93], s[68:69], v[18:19], v[20:21]
	global_load_dwordx4 v[18:21], v[16:17], off offset:16
	s_waitcnt vmcnt(0)
	v_fma_f64 v[40:41], s[56:57], v[18:19], v[40:41]
	v_fma_f64 v[88:89], s[40:41], v[18:19], v[88:89]
	v_fma_f64 v[90:91], s[8:9], v[18:19], v[90:91]
	v_fma_f64 v[18:19], s[72:73], v[18:19], v[92:93]
	v_fma_f64 v[40:41], s[58:59], v[20:21], v[40:41]
	v_fma_f64 v[88:89], s[42:43], v[20:21], v[88:89]
	v_fma_f64 v[90:91], s[10:11], v[20:21], v[90:91]
	v_fma_f64 v[92:93], s[74:75], v[20:21], v[18:19]
	global_load_dwordx4 v[18:21], v[16:17], off offset:32
	s_waitcnt vmcnt(0)
	v_fma_f64 v[40:41], s[60:61], v[18:19], v[40:41]
	v_fma_f64 v[88:89], s[44:45], v[18:19], v[88:89]
	v_fma_f64 v[90:91], s[12:13], v[18:19], v[90:91]
	v_fma_f64 v[18:19], s[76:77], v[18:19], v[92:93]
	;; [unrolled: 10-line block ×3, first 2 shown]
	v_fma_f64 v[20:21], s[66:67], v[18:19], v[40:41]
	v_fma_f64 v[40:41], s[50:51], v[18:19], v[88:89]
	;; [unrolled: 1-line block ×4, first 2 shown]
	global_load_dwordx4 v[16:19], v[14:15], off
	s_waitcnt vmcnt(0)
	v_fma_f64 v[42:43], v[20:21], v[16:17], v[42:43]
	v_fma_f64 v[44:45], v[20:21], v[18:19], v[44:45]
	;; [unrolled: 1-line block ×8, first 2 shown]
	global_load_dwordx4 v[16:19], v[14:15], off offset:16
	v_fma_f64 v[56:57], -v[0:1], v[92:93], s[36:37]
	v_fma_f64 v[8:9], -v[0:1], v[100:101], s[68:69]
	;; [unrolled: 1-line block ×3, first 2 shown]
	s_waitcnt vmcnt(0)
	v_fma_f64 v[46:47], v[20:21], v[16:17], v[58:59]
	v_fma_f64 v[48:49], v[20:21], v[18:19], v[60:61]
	;; [unrolled: 1-line block ×8, first 2 shown]
	global_load_dwordx4 v[16:19], v[14:15], off offset:32
	v_fma_f64 v[58:59], -v[0:1], v[94:95], s[38:39]
	v_fma_f64 v[60:61], -v[0:1], v[60:61], s[40:41]
	;; [unrolled: 1-line block ×3, first 2 shown]
	s_waitcnt vmcnt(0)
	v_fma_f64 v[50:51], v[20:21], v[16:17], v[74:75]
	v_fma_f64 v[64:65], v[40:41], v[16:17], v[78:79]
	;; [unrolled: 1-line block ×4, first 2 shown]
	global_load_dwordx4 v[14:17], v[14:15], off offset:48
	v_fma_f64 v[52:53], v[20:21], v[18:19], v[76:77]
	v_fma_f64 v[66:67], v[40:41], v[18:19], v[80:81]
	;; [unrolled: 1-line block ×4, first 2 shown]
	v_fma_f64 v[64:65], -v[0:1], v[64:65], s[44:45]
	v_fma_f64 v[66:67], -v[0:1], v[66:67], s[46:47]
	;; [unrolled: 1-line block ×3, first 2 shown]
	s_waitcnt vmcnt(0)
	v_fma_f64 v[22:23], v[20:21], v[14:15], v[28:29]
	v_fma_f64 v[20:21], v[20:21], v[16:17], v[24:25]
	;; [unrolled: 1-line block ×8, first 2 shown]
	global_load_dwordx4 v[14:17], v[12:13], off
	v_fma_f64 v[40:41], -v[0:1], v[42:43], s[52:53]
	v_fma_f64 v[42:43], -v[0:1], v[44:45], s[54:55]
	;; [unrolled: 1-line block ×20, first 2 shown]
	s_waitcnt vmcnt(0)
	v_ashrrev_i32_e32 v87, 31, v14
	v_mov_b32_e32 v86, v14
	v_ashrrev_i32_e32 v89, 31, v15
	v_mov_b32_e32 v88, v15
	global_load_dwordx4 v[12:15], v[12:13], off offset:16
	v_ashrrev_i32_e32 v91, 31, v16
	v_mov_b32_e32 v90, v16
	v_ashrrev_i32_e32 v111, 31, v17
	v_mov_b32_e32 v110, v17
	v_fma_f64 v[16:17], -v[0:1], v[78:79], s[76:77]
	v_lshlrev_b64 v[74:75], 3, v[86:87]
	s_waitcnt vmcnt(0)
	v_ashrrev_i32_e32 v117, 31, v14
	v_mov_b32_e32 v116, v14
	v_ashrrev_i32_e32 v119, 31, v15
	v_mov_b32_e32 v118, v15
	v_fma_f64 v[14:15], -v[0:1], v[72:73], s[74:75]
	v_lshlrev_b64 v[72:73], 3, v[88:89]
	v_ashrrev_i32_e32 v113, 31, v12
	v_mov_b32_e32 v112, v12
	v_ashrrev_i32_e32 v115, 31, v13
	v_mov_b32_e32 v114, v13
	v_fma_f64 v[12:13], -v[0:1], v[108:109], s[72:73]
	v_add_co_u32 v0, vcc_lo, s86, v72
	v_add_co_ci_u32_e64 v1, null, s87, v73, vcc_lo
	v_add_co_u32 v2, vcc_lo, s86, v74
	v_add_co_ci_u32_e64 v3, null, s87, v75, vcc_lo
	s_clause 0x1
	global_load_dwordx2 v[0:1], v[0:1], off
	global_load_dwordx2 v[2:3], v[2:3], off
	s_waitcnt vmcnt(1)
	v_mul_f64 v[76:77], v[0:1], v[42:43]
	v_mul_f64 v[78:79], v[0:1], v[58:59]
	;; [unrolled: 1-line block ×4, first 2 shown]
	s_waitcnt vmcnt(0)
	v_fma_f64 v[82:83], v[2:3], v[40:41], v[76:77]
	v_lshlrev_b64 v[76:77], 3, v[90:91]
	v_fma_f64 v[78:79], v[2:3], v[56:57], v[78:79]
	v_fma_f64 v[80:81], v[2:3], v[24:25], v[80:81]
	v_fma_f64 v[0:1], v[2:3], v[8:9], v[0:1]
	v_add_co_u32 v2, vcc_lo, s86, v76
	v_add_co_ci_u32_e64 v3, null, s87, v77, vcc_lo
	global_load_dwordx2 v[2:3], v[2:3], off
	s_waitcnt vmcnt(0)
	v_fma_f64 v[84:85], v[2:3], v[60:61], v[78:79]
	v_lshlrev_b64 v[78:79], 3, v[110:111]
	v_fma_f64 v[82:83], v[2:3], v[44:45], v[82:83]
	v_fma_f64 v[80:81], v[2:3], v[28:29], v[80:81]
	v_fma_f64 v[0:1], v[2:3], v[12:13], v[0:1]
	v_add_co_u32 v2, vcc_lo, s86, v78
	v_add_co_ci_u32_e64 v3, null, s87, v79, vcc_lo
	global_load_dwordx2 v[2:3], v[2:3], off
	;; [unrolled: 9-line block ×6, first 2 shown]
	s_waitcnt vmcnt(0)
	v_fma_f64 v[94:95], v[2:3], v[70:71], v[90:91]
	v_fma_f64 v[92:93], v[2:3], v[54:55], v[88:89]
	;; [unrolled: 1-line block ×4, first 2 shown]
	v_add_co_u32 v96, vcc_lo, s28, v6
	v_add_co_ci_u32_e64 v97, null, s29, v7, vcc_lo
	v_mul_f64 v[0:1], v[56:57], v[94:95]
	v_mul_f64 v[2:3], v[58:59], v[94:95]
	v_fma_f64 v[0:1], v[40:41], v[92:93], v[0:1]
	v_fma_f64 v[2:3], v[42:43], v[92:93], v[2:3]
	;; [unrolled: 1-line block ×6, first 2 shown]
	v_mul_f64 v[0:1], v[4:5], v[0:1]
	v_mul_f64 v[2:3], v[4:5], v[2:3]
	global_store_dwordx4 v[96:97], v[0:3], off
	v_mul_f64 v[0:1], v[60:61], v[94:95]
	v_mul_f64 v[2:3], v[62:63], v[94:95]
	v_fma_f64 v[0:1], v[44:45], v[92:93], v[0:1]
	v_fma_f64 v[2:3], v[46:47], v[92:93], v[2:3]
	v_fma_f64 v[0:1], v[28:29], v[90:91], v[0:1]
	v_fma_f64 v[2:3], v[30:31], v[90:91], v[2:3]
	v_fma_f64 v[0:1], v[12:13], v[88:89], v[0:1]
	v_fma_f64 v[2:3], v[14:15], v[88:89], v[2:3]
	v_mul_f64 v[0:1], v[4:5], v[0:1]
	v_mul_f64 v[2:3], v[4:5], v[2:3]
	global_store_dwordx4 v[96:97], v[0:3], off offset:16
	v_mul_f64 v[0:1], v[64:65], v[94:95]
	v_mul_f64 v[2:3], v[66:67], v[94:95]
	v_fma_f64 v[0:1], v[48:49], v[92:93], v[0:1]
	v_fma_f64 v[2:3], v[50:51], v[92:93], v[2:3]
	v_fma_f64 v[0:1], v[32:33], v[90:91], v[0:1]
	v_fma_f64 v[2:3], v[34:35], v[90:91], v[2:3]
	v_fma_f64 v[0:1], v[16:17], v[88:89], v[0:1]
	v_fma_f64 v[2:3], v[18:19], v[88:89], v[2:3]
	v_mul_f64 v[0:1], v[4:5], v[0:1]
	v_mul_f64 v[2:3], v[4:5], v[2:3]
	global_store_dwordx4 v[96:97], v[0:3], off offset:32
	;; [unrolled: 11-line block ×3, first 2 shown]
	v_add_co_u32 v0, vcc_lo, s20, v72
	v_add_co_ci_u32_e64 v1, null, s21, v73, vcc_lo
	v_add_co_u32 v2, vcc_lo, s20, v74
	v_add_co_ci_u32_e64 v3, null, s21, v75, vcc_lo
	s_clause 0x1
	global_load_dwordx2 v[0:1], v[0:1], off
	global_load_dwordx2 v[2:3], v[2:3], off
	s_waitcnt vmcnt(1)
	v_mul_f64 v[88:89], v[0:1], v[42:43]
	v_mul_f64 v[90:91], v[0:1], v[58:59]
	;; [unrolled: 1-line block ×4, first 2 shown]
	s_waitcnt vmcnt(0)
	v_fma_f64 v[88:89], v[2:3], v[40:41], v[88:89]
	v_fma_f64 v[90:91], v[2:3], v[56:57], v[90:91]
	v_fma_f64 v[92:93], v[2:3], v[24:25], v[92:93]
	v_fma_f64 v[0:1], v[2:3], v[8:9], v[0:1]
	v_add_co_u32 v2, vcc_lo, s20, v76
	v_add_co_ci_u32_e64 v3, null, s21, v77, vcc_lo
	global_load_dwordx2 v[2:3], v[2:3], off
	s_waitcnt vmcnt(0)
	v_fma_f64 v[88:89], v[2:3], v[44:45], v[88:89]
	v_fma_f64 v[90:91], v[2:3], v[60:61], v[90:91]
	v_fma_f64 v[92:93], v[2:3], v[28:29], v[92:93]
	v_fma_f64 v[0:1], v[2:3], v[12:13], v[0:1]
	v_add_co_u32 v2, vcc_lo, s20, v78
	v_add_co_ci_u32_e64 v3, null, s21, v79, vcc_lo
	global_load_dwordx2 v[2:3], v[2:3], off
	s_waitcnt vmcnt(0)
	v_fma_f64 v[88:89], v[2:3], v[46:47], v[88:89]
	v_fma_f64 v[90:91], v[2:3], v[62:63], v[90:91]
	v_fma_f64 v[92:93], v[2:3], v[30:31], v[92:93]
	v_fma_f64 v[0:1], v[2:3], v[14:15], v[0:1]
	v_add_co_u32 v2, vcc_lo, s20, v80
	v_add_co_ci_u32_e64 v3, null, s21, v81, vcc_lo
	global_load_dwordx2 v[2:3], v[2:3], off
	s_waitcnt vmcnt(0)
	v_fma_f64 v[88:89], v[2:3], v[48:49], v[88:89]
	v_fma_f64 v[90:91], v[2:3], v[64:65], v[90:91]
	v_fma_f64 v[92:93], v[2:3], v[32:33], v[92:93]
	v_fma_f64 v[0:1], v[2:3], v[16:17], v[0:1]
	v_add_co_u32 v2, vcc_lo, s20, v82
	v_add_co_ci_u32_e64 v3, null, s21, v83, vcc_lo
	global_load_dwordx2 v[2:3], v[2:3], off
	s_waitcnt vmcnt(0)
	v_fma_f64 v[88:89], v[2:3], v[50:51], v[88:89]
	v_fma_f64 v[90:91], v[2:3], v[66:67], v[90:91]
	v_fma_f64 v[92:93], v[2:3], v[34:35], v[92:93]
	v_fma_f64 v[0:1], v[2:3], v[18:19], v[0:1]
	v_add_co_u32 v2, vcc_lo, s20, v84
	v_add_co_ci_u32_e64 v3, null, s21, v85, vcc_lo
	global_load_dwordx2 v[2:3], v[2:3], off
	s_waitcnt vmcnt(0)
	v_fma_f64 v[88:89], v[2:3], v[52:53], v[88:89]
	v_fma_f64 v[90:91], v[2:3], v[68:69], v[90:91]
	;; [unrolled: 1-line block ×4, first 2 shown]
	v_add_co_u32 v2, vcc_lo, s20, v86
	v_add_co_ci_u32_e64 v3, null, s21, v87, vcc_lo
	v_add_co_u32 v96, vcc_lo, s30, v6
	v_add_co_ci_u32_e64 v97, null, s31, v7, vcc_lo
	global_load_dwordx2 v[2:3], v[2:3], off
	s_waitcnt vmcnt(0)
	v_fma_f64 v[90:91], v[2:3], v[70:71], v[90:91]
	v_fma_f64 v[88:89], v[2:3], v[54:55], v[88:89]
	;; [unrolled: 1-line block ×4, first 2 shown]
	v_mul_f64 v[0:1], v[56:57], v[90:91]
	v_mul_f64 v[2:3], v[58:59], v[90:91]
	v_fma_f64 v[0:1], v[40:41], v[88:89], v[0:1]
	v_fma_f64 v[2:3], v[42:43], v[88:89], v[2:3]
	;; [unrolled: 1-line block ×6, first 2 shown]
	v_mul_f64 v[0:1], v[4:5], v[0:1]
	v_mul_f64 v[2:3], v[4:5], v[2:3]
	global_store_dwordx4 v[96:97], v[0:3], off
	v_mul_f64 v[0:1], v[60:61], v[90:91]
	v_mul_f64 v[2:3], v[62:63], v[90:91]
	v_fma_f64 v[0:1], v[44:45], v[88:89], v[0:1]
	v_fma_f64 v[2:3], v[46:47], v[88:89], v[2:3]
	v_fma_f64 v[0:1], v[28:29], v[92:93], v[0:1]
	v_fma_f64 v[2:3], v[30:31], v[92:93], v[2:3]
	v_fma_f64 v[0:1], v[12:13], v[94:95], v[0:1]
	v_fma_f64 v[2:3], v[14:15], v[94:95], v[2:3]
	v_mul_f64 v[0:1], v[4:5], v[0:1]
	v_mul_f64 v[2:3], v[4:5], v[2:3]
	global_store_dwordx4 v[96:97], v[0:3], off offset:16
	v_mul_f64 v[0:1], v[64:65], v[90:91]
	v_mul_f64 v[2:3], v[66:67], v[90:91]
	v_fma_f64 v[0:1], v[48:49], v[88:89], v[0:1]
	v_fma_f64 v[2:3], v[50:51], v[88:89], v[2:3]
	v_fma_f64 v[0:1], v[32:33], v[92:93], v[0:1]
	v_fma_f64 v[2:3], v[34:35], v[92:93], v[2:3]
	v_fma_f64 v[0:1], v[16:17], v[94:95], v[0:1]
	v_fma_f64 v[2:3], v[18:19], v[94:95], v[2:3]
	v_mul_f64 v[0:1], v[4:5], v[0:1]
	v_mul_f64 v[2:3], v[4:5], v[2:3]
	global_store_dwordx4 v[96:97], v[0:3], off offset:32
	v_mul_f64 v[0:1], v[68:69], v[90:91]
	v_mul_f64 v[2:3], v[70:71], v[90:91]
	v_fma_f64 v[0:1], v[52:53], v[88:89], v[0:1]
	v_fma_f64 v[2:3], v[54:55], v[88:89], v[2:3]
	v_fma_f64 v[0:1], v[36:37], v[92:93], v[0:1]
	v_fma_f64 v[2:3], v[38:39], v[92:93], v[2:3]
	v_fma_f64 v[0:1], v[20:21], v[94:95], v[0:1]
	v_fma_f64 v[2:3], v[22:23], v[94:95], v[2:3]
	v_mul_f64 v[0:1], v[4:5], v[0:1]
	v_mul_f64 v[2:3], v[4:5], v[2:3]
	global_store_dwordx4 v[96:97], v[0:3], off offset:48
	v_add_co_u32 v0, vcc_lo, s22, v74
	v_add_co_ci_u32_e64 v1, null, s23, v75, vcc_lo
	v_add_co_u32 v2, vcc_lo, s22, v72
	v_add_co_ci_u32_e64 v3, null, s23, v73, vcc_lo
	;; [unrolled: 2-line block ×8, first 2 shown]
	s_clause 0x7
	global_load_dwordx2 v[2:3], v[2:3], off
	global_load_dwordx2 v[0:1], v[0:1], off
	;; [unrolled: 1-line block ×8, first 2 shown]
	s_waitcnt vmcnt(7)
	v_mul_f64 v[84:85], v[2:3], v[58:59]
	s_waitcnt vmcnt(6)
	v_fma_f64 v[84:85], v[0:1], v[56:57], v[84:85]
	s_waitcnt vmcnt(5)
	v_fma_f64 v[84:85], v[72:73], v[60:61], v[84:85]
	;; [unrolled: 2-line block ×7, first 2 shown]
	v_mul_f64 v[56:57], v[56:57], v[84:85]
	v_mul_f64 v[58:59], v[58:59], v[84:85]
	v_mul_f64 v[60:61], v[60:61], v[84:85]
	v_mul_f64 v[62:63], v[62:63], v[84:85]
	v_mul_f64 v[64:65], v[64:65], v[84:85]
	v_mul_f64 v[66:67], v[66:67], v[84:85]
	v_mul_f64 v[68:69], v[68:69], v[84:85]
	v_mul_f64 v[70:71], v[70:71], v[84:85]
	v_mul_f64 v[84:85], v[2:3], v[42:43]
	v_fma_f64 v[84:85], v[0:1], v[40:41], v[84:85]
	v_fma_f64 v[84:85], v[72:73], v[44:45], v[84:85]
	v_fma_f64 v[84:85], v[74:75], v[46:47], v[84:85]
	v_fma_f64 v[84:85], v[76:77], v[48:49], v[84:85]
	v_fma_f64 v[84:85], v[78:79], v[50:51], v[84:85]
	v_fma_f64 v[84:85], v[80:81], v[52:53], v[84:85]
	v_fma_f64 v[84:85], v[82:83], v[54:55], v[84:85]
	v_fma_f64 v[40:41], v[40:41], v[84:85], v[56:57]
	v_mul_f64 v[56:57], v[2:3], v[26:27]
	v_mul_f64 v[2:3], v[2:3], v[10:11]
	v_fma_f64 v[42:43], v[42:43], v[84:85], v[58:59]
	v_fma_f64 v[44:45], v[44:45], v[84:85], v[60:61]
	;; [unrolled: 1-line block ×37, first 2 shown]
	v_mul_f64 v[0:1], v[4:5], v[2:3]
	v_mul_f64 v[2:3], v[4:5], v[8:9]
	;; [unrolled: 1-line block ×8, first 2 shown]
	v_add_co_u32 v4, vcc_lo, s88, v6
	v_add_co_ci_u32_e64 v5, null, s89, v7, vcc_lo
	global_store_dwordx4 v[4:5], v[0:3], off
	global_store_dwordx4 v[4:5], v[8:11], off offset:16
	global_store_dwordx4 v[4:5], v[12:15], off offset:32
	;; [unrolled: 1-line block ×3, first 2 shown]
.LBB4_2:
	s_endpgm
	.section	.rodata,"a",@progbits
	.p2align	6, 0x0
	.amdhsa_kernel _Z2fbPKdS0_S0_S0_S0_S0_S0_S0_S0_S0_S0_S0_PKiS0_PdS3_S3_di
		.amdhsa_group_segment_fixed_size 0
		.amdhsa_private_segment_fixed_size 0
		.amdhsa_kernarg_size 408
		.amdhsa_user_sgpr_count 6
		.amdhsa_user_sgpr_private_segment_buffer 1
		.amdhsa_user_sgpr_dispatch_ptr 0
		.amdhsa_user_sgpr_queue_ptr 0
		.amdhsa_user_sgpr_kernarg_segment_ptr 1
		.amdhsa_user_sgpr_dispatch_id 0
		.amdhsa_user_sgpr_flat_scratch_init 0
		.amdhsa_user_sgpr_private_segment_size 0
		.amdhsa_wavefront_size32 1
		.amdhsa_uses_dynamic_stack 0
		.amdhsa_system_sgpr_private_segment_wavefront_offset 0
		.amdhsa_system_sgpr_workgroup_id_x 1
		.amdhsa_system_sgpr_workgroup_id_y 0
		.amdhsa_system_sgpr_workgroup_id_z 0
		.amdhsa_system_sgpr_workgroup_info 0
		.amdhsa_system_vgpr_workitem_id 0
		.amdhsa_next_free_vgpr 120
		.amdhsa_next_free_sgpr 92
		.amdhsa_reserve_vcc 1
		.amdhsa_reserve_flat_scratch 0
		.amdhsa_float_round_mode_32 0
		.amdhsa_float_round_mode_16_64 0
		.amdhsa_float_denorm_mode_32 3
		.amdhsa_float_denorm_mode_16_64 3
		.amdhsa_dx10_clamp 1
		.amdhsa_ieee_mode 1
		.amdhsa_fp16_overflow 0
		.amdhsa_workgroup_processor_mode 1
		.amdhsa_memory_ordered 1
		.amdhsa_forward_progress 1
		.amdhsa_shared_vgpr_count 0
		.amdhsa_exception_fp_ieee_invalid_op 0
		.amdhsa_exception_fp_denorm_src 0
		.amdhsa_exception_fp_ieee_div_zero 0
		.amdhsa_exception_fp_ieee_overflow 0
		.amdhsa_exception_fp_ieee_underflow 0
		.amdhsa_exception_fp_ieee_inexact 0
		.amdhsa_exception_int_div_zero 0
	.end_amdhsa_kernel
	.text
.Lfunc_end4:
	.size	_Z2fbPKdS0_S0_S0_S0_S0_S0_S0_S0_S0_S0_S0_PKiS0_PdS3_S3_di, .Lfunc_end4-_Z2fbPKdS0_S0_S0_S0_S0_S0_S0_S0_S0_S0_S0_PKiS0_PdS3_S3_di
                                        ; -- End function
	.set _Z2fbPKdS0_S0_S0_S0_S0_S0_S0_S0_S0_S0_S0_PKiS0_PdS3_S3_di.num_vgpr, 120
	.set _Z2fbPKdS0_S0_S0_S0_S0_S0_S0_S0_S0_S0_S0_PKiS0_PdS3_S3_di.num_agpr, 0
	.set _Z2fbPKdS0_S0_S0_S0_S0_S0_S0_S0_S0_S0_S0_PKiS0_PdS3_S3_di.numbered_sgpr, 92
	.set _Z2fbPKdS0_S0_S0_S0_S0_S0_S0_S0_S0_S0_S0_PKiS0_PdS3_S3_di.num_named_barrier, 0
	.set _Z2fbPKdS0_S0_S0_S0_S0_S0_S0_S0_S0_S0_S0_PKiS0_PdS3_S3_di.private_seg_size, 0
	.set _Z2fbPKdS0_S0_S0_S0_S0_S0_S0_S0_S0_S0_S0_PKiS0_PdS3_S3_di.uses_vcc, 1
	.set _Z2fbPKdS0_S0_S0_S0_S0_S0_S0_S0_S0_S0_S0_PKiS0_PdS3_S3_di.uses_flat_scratch, 0
	.set _Z2fbPKdS0_S0_S0_S0_S0_S0_S0_S0_S0_S0_S0_PKiS0_PdS3_S3_di.has_dyn_sized_stack, 0
	.set _Z2fbPKdS0_S0_S0_S0_S0_S0_S0_S0_S0_S0_S0_PKiS0_PdS3_S3_di.has_recursion, 0
	.set _Z2fbPKdS0_S0_S0_S0_S0_S0_S0_S0_S0_S0_S0_PKiS0_PdS3_S3_di.has_indirect_call, 0
	.section	.AMDGPU.csdata,"",@progbits
; Kernel info:
; codeLenInByte = 5584
; TotalNumSgprs: 94
; NumVgprs: 120
; ScratchSize: 0
; MemoryBound: 0
; FloatMode: 240
; IeeeMode: 1
; LDSByteSize: 0 bytes/workgroup (compile time only)
; SGPRBlocks: 0
; VGPRBlocks: 14
; NumSGPRsForWavesPerEU: 94
; NumVGPRsForWavesPerEU: 120
; Occupancy: 8
; WaveLimiterHint : 1
; COMPUTE_PGM_RSRC2:SCRATCH_EN: 0
; COMPUTE_PGM_RSRC2:USER_SGPR: 6
; COMPUTE_PGM_RSRC2:TRAP_HANDLER: 0
; COMPUTE_PGM_RSRC2:TGID_X_EN: 1
; COMPUTE_PGM_RSRC2:TGID_Y_EN: 0
; COMPUTE_PGM_RSRC2:TGID_Z_EN: 0
; COMPUTE_PGM_RSRC2:TIDIG_COMP_CNT: 0
	.text
	.protected	_Z19collect_final_forcePKdS0_S0_PdS1_S1_PKiS3_i ; -- Begin function _Z19collect_final_forcePKdS0_S0_PdS1_S1_PKiS3_i
	.globl	_Z19collect_final_forcePKdS0_S0_PdS1_S1_PKiS3_i
	.p2align	8
	.type	_Z19collect_final_forcePKdS0_S0_PdS1_S1_PKiS3_i,@function
_Z19collect_final_forcePKdS0_S0_PdS1_S1_PKiS3_i: ; @_Z19collect_final_forcePKdS0_S0_PdS1_S1_PKiS3_i
; %bb.0:
	s_clause 0x1
	s_load_dword s0, s[4:5], 0x54
	s_load_dword s1, s[4:5], 0x40
	s_waitcnt lgkmcnt(0)
	s_and_b32 s0, s0, 0xffff
	v_mad_u64_u32 v[0:1], null, s6, s0, v[0:1]
	s_mov_b32 s0, exec_lo
	v_cmpx_gt_i32_e64 s1, v0
	s_cbranch_execz .LBB5_6
; %bb.1:
	s_load_dwordx8 s[8:15], s[4:5], 0x18
	v_ashrrev_i32_e32 v1, 31, v0
	v_mov_b32_e32 v4, 0
	v_mov_b32_e32 v6, 0
	;; [unrolled: 1-line block ×4, first 2 shown]
	v_lshlrev_b64 v[2:3], 2, v[0:1]
	s_mov_b32 s6, 0
	s_mov_b32 s1, exec_lo
	s_waitcnt lgkmcnt(0)
	v_add_co_u32 v2, vcc_lo, s14, v2
	v_add_co_ci_u32_e64 v3, null, s15, v3, vcc_lo
	global_load_dwordx2 v[8:9], v[2:3], off
	v_mov_b32_e32 v2, 0
	v_mov_b32_e32 v3, 0
	s_waitcnt vmcnt(0)
	v_sub_nc_u32_e32 v10, v9, v8
	v_cmpx_lt_i32_e32 0, v10
	s_cbranch_execz .LBB5_5
; %bb.2:
	s_clause 0x2
	s_load_dwordx2 s[14:15], s[4:5], 0x38
	s_load_dwordx4 s[16:19], s[4:5], 0x0
	s_load_dwordx2 s[2:3], s[4:5], 0x10
	v_ashrrev_i32_e32 v9, 31, v8
	v_mov_b32_e32 v2, 0
	v_mov_b32_e32 v4, 0
	;; [unrolled: 1-line block ×4, first 2 shown]
	v_lshlrev_b64 v[8:9], 2, v[8:9]
	v_mov_b32_e32 v5, 0
	v_mov_b32_e32 v7, 0
	s_mov_b32 s4, 0
	s_waitcnt lgkmcnt(0)
	v_add_co_u32 v8, vcc_lo, s14, v8
	v_add_co_ci_u32_e64 v9, null, s15, v9, vcc_lo
	s_inst_prefetch 0x1
	.p2align	6
.LBB5_3:                                ; =>This Inner Loop Header: Depth=1
	global_load_dword v11, v[8:9], off
	s_add_i32 s4, s4, 1
	v_add_co_u32 v8, s0, v8, 4
	v_add_co_ci_u32_e64 v9, null, 0, v9, s0
	s_waitcnt vmcnt(0)
	v_ashrrev_i32_e32 v12, 31, v11
	v_lshlrev_b64 v[11:12], 3, v[11:12]
	v_add_co_u32 v13, vcc_lo, s16, v11
	v_add_co_ci_u32_e64 v14, null, s17, v12, vcc_lo
	v_add_co_u32 v15, vcc_lo, s18, v11
	v_add_co_ci_u32_e64 v16, null, s19, v12, vcc_lo
	;; [unrolled: 2-line block ×3, first 2 shown]
	global_load_dwordx2 v[13:14], v[13:14], off
	global_load_dwordx2 v[15:16], v[15:16], off
	;; [unrolled: 1-line block ×3, first 2 shown]
	v_cmp_ge_i32_e32 vcc_lo, s4, v10
	s_or_b32 s6, vcc_lo, s6
	s_waitcnt vmcnt(2)
	v_add_f64 v[6:7], v[6:7], v[13:14]
	s_waitcnt vmcnt(1)
	v_add_f64 v[4:5], v[4:5], v[15:16]
	;; [unrolled: 2-line block ×3, first 2 shown]
	s_andn2_b32 exec_lo, exec_lo, s6
	s_cbranch_execnz .LBB5_3
; %bb.4:
	s_inst_prefetch 0x2
	s_or_b32 exec_lo, exec_lo, s6
.LBB5_5:
	s_or_b32 exec_lo, exec_lo, s1
	v_lshlrev_b64 v[0:1], 3, v[0:1]
	v_add_co_u32 v8, vcc_lo, s8, v0
	v_add_co_ci_u32_e64 v9, null, s9, v1, vcc_lo
	v_add_co_u32 v10, vcc_lo, s10, v0
	v_add_co_ci_u32_e64 v11, null, s11, v1, vcc_lo
	;; [unrolled: 2-line block ×3, first 2 shown]
	global_store_dwordx2 v[8:9], v[6:7], off
	global_store_dwordx2 v[10:11], v[4:5], off
	;; [unrolled: 1-line block ×3, first 2 shown]
.LBB5_6:
	s_endpgm
	.section	.rodata,"a",@progbits
	.p2align	6, 0x0
	.amdhsa_kernel _Z19collect_final_forcePKdS0_S0_PdS1_S1_PKiS3_i
		.amdhsa_group_segment_fixed_size 0
		.amdhsa_private_segment_fixed_size 0
		.amdhsa_kernarg_size 328
		.amdhsa_user_sgpr_count 6
		.amdhsa_user_sgpr_private_segment_buffer 1
		.amdhsa_user_sgpr_dispatch_ptr 0
		.amdhsa_user_sgpr_queue_ptr 0
		.amdhsa_user_sgpr_kernarg_segment_ptr 1
		.amdhsa_user_sgpr_dispatch_id 0
		.amdhsa_user_sgpr_flat_scratch_init 0
		.amdhsa_user_sgpr_private_segment_size 0
		.amdhsa_wavefront_size32 1
		.amdhsa_uses_dynamic_stack 0
		.amdhsa_system_sgpr_private_segment_wavefront_offset 0
		.amdhsa_system_sgpr_workgroup_id_x 1
		.amdhsa_system_sgpr_workgroup_id_y 0
		.amdhsa_system_sgpr_workgroup_id_z 0
		.amdhsa_system_sgpr_workgroup_info 0
		.amdhsa_system_vgpr_workitem_id 0
		.amdhsa_next_free_vgpr 17
		.amdhsa_next_free_sgpr 20
		.amdhsa_reserve_vcc 1
		.amdhsa_reserve_flat_scratch 0
		.amdhsa_float_round_mode_32 0
		.amdhsa_float_round_mode_16_64 0
		.amdhsa_float_denorm_mode_32 3
		.amdhsa_float_denorm_mode_16_64 3
		.amdhsa_dx10_clamp 1
		.amdhsa_ieee_mode 1
		.amdhsa_fp16_overflow 0
		.amdhsa_workgroup_processor_mode 1
		.amdhsa_memory_ordered 1
		.amdhsa_forward_progress 1
		.amdhsa_shared_vgpr_count 0
		.amdhsa_exception_fp_ieee_invalid_op 0
		.amdhsa_exception_fp_denorm_src 0
		.amdhsa_exception_fp_ieee_div_zero 0
		.amdhsa_exception_fp_ieee_overflow 0
		.amdhsa_exception_fp_ieee_underflow 0
		.amdhsa_exception_fp_ieee_inexact 0
		.amdhsa_exception_int_div_zero 0
	.end_amdhsa_kernel
	.text
.Lfunc_end5:
	.size	_Z19collect_final_forcePKdS0_S0_PdS1_S1_PKiS3_i, .Lfunc_end5-_Z19collect_final_forcePKdS0_S0_PdS1_S1_PKiS3_i
                                        ; -- End function
	.set _Z19collect_final_forcePKdS0_S0_PdS1_S1_PKiS3_i.num_vgpr, 17
	.set _Z19collect_final_forcePKdS0_S0_PdS1_S1_PKiS3_i.num_agpr, 0
	.set _Z19collect_final_forcePKdS0_S0_PdS1_S1_PKiS3_i.numbered_sgpr, 20
	.set _Z19collect_final_forcePKdS0_S0_PdS1_S1_PKiS3_i.num_named_barrier, 0
	.set _Z19collect_final_forcePKdS0_S0_PdS1_S1_PKiS3_i.private_seg_size, 0
	.set _Z19collect_final_forcePKdS0_S0_PdS1_S1_PKiS3_i.uses_vcc, 1
	.set _Z19collect_final_forcePKdS0_S0_PdS1_S1_PKiS3_i.uses_flat_scratch, 0
	.set _Z19collect_final_forcePKdS0_S0_PdS1_S1_PKiS3_i.has_dyn_sized_stack, 0
	.set _Z19collect_final_forcePKdS0_S0_PdS1_S1_PKiS3_i.has_recursion, 0
	.set _Z19collect_final_forcePKdS0_S0_PdS1_S1_PKiS3_i.has_indirect_call, 0
	.section	.AMDGPU.csdata,"",@progbits
; Kernel info:
; codeLenInByte = 520
; TotalNumSgprs: 22
; NumVgprs: 17
; ScratchSize: 0
; MemoryBound: 0
; FloatMode: 240
; IeeeMode: 1
; LDSByteSize: 0 bytes/workgroup (compile time only)
; SGPRBlocks: 0
; VGPRBlocks: 2
; NumSGPRsForWavesPerEU: 22
; NumVGPRsForWavesPerEU: 17
; Occupancy: 16
; WaveLimiterHint : 1
; COMPUTE_PGM_RSRC2:SCRATCH_EN: 0
; COMPUTE_PGM_RSRC2:USER_SGPR: 6
; COMPUTE_PGM_RSRC2:TRAP_HANDLER: 0
; COMPUTE_PGM_RSRC2:TGID_X_EN: 1
; COMPUTE_PGM_RSRC2:TGID_Y_EN: 0
; COMPUTE_PGM_RSRC2:TGID_Z_EN: 0
; COMPUTE_PGM_RSRC2:TIDIG_COMP_CNT: 0
	.text
	.protected	_Z19accelerationForNodePKdS0_S0_S0_PdS1_S1_i ; -- Begin function _Z19accelerationForNodePKdS0_S0_S0_PdS1_S1_i
	.globl	_Z19accelerationForNodePKdS0_S0_S0_PdS1_S1_i
	.p2align	8
	.type	_Z19accelerationForNodePKdS0_S0_S0_PdS1_S1_i,@function
_Z19accelerationForNodePKdS0_S0_S0_PdS1_S1_i: ; @_Z19accelerationForNodePKdS0_S0_S0_PdS1_S1_i
; %bb.0:
	s_clause 0x1
	s_load_dword s0, s[4:5], 0x4c
	s_load_dword s1, s[4:5], 0x38
	s_waitcnt lgkmcnt(0)
	s_and_b32 s0, s0, 0xffff
	v_mad_u64_u32 v[0:1], null, s6, s0, v[0:1]
	s_mov_b32 s0, exec_lo
	v_cmpx_gt_i32_e64 s1, v0
	s_cbranch_execz .LBB6_2
; %bb.1:
	s_load_dwordx8 s[8:15], s[4:5], 0x0
	v_ashrrev_i32_e32 v1, 31, v0
	v_lshlrev_b64 v[0:1], 3, v[0:1]
	s_waitcnt lgkmcnt(0)
	v_add_co_u32 v2, vcc_lo, s14, v0
	v_add_co_ci_u32_e64 v3, null, s15, v1, vcc_lo
	v_add_co_u32 v4, vcc_lo, s8, v0
	v_add_co_ci_u32_e64 v5, null, s9, v1, vcc_lo
	global_load_dwordx2 v[2:3], v[2:3], off
	v_add_co_u32 v6, vcc_lo, s10, v0
	v_add_co_ci_u32_e64 v7, null, s11, v1, vcc_lo
	v_add_co_u32 v8, vcc_lo, s12, v0
	v_add_co_ci_u32_e64 v9, null, s13, v1, vcc_lo
	global_load_dwordx2 v[4:5], v[4:5], off
	global_load_dwordx2 v[6:7], v[6:7], off
	;; [unrolled: 1-line block ×3, first 2 shown]
	s_clause 0x1
	s_load_dwordx4 s[0:3], s[4:5], 0x20
	s_load_dwordx2 s[4:5], s[4:5], 0x30
	s_waitcnt vmcnt(3)
	v_div_scale_f64 v[10:11], null, v[2:3], v[2:3], 1.0
	v_div_scale_f64 v[16:17], vcc_lo, 1.0, v[2:3], 1.0
	v_rcp_f64_e32 v[12:13], v[10:11]
	v_fma_f64 v[14:15], -v[10:11], v[12:13], 1.0
	v_fma_f64 v[12:13], v[12:13], v[14:15], v[12:13]
	v_fma_f64 v[14:15], -v[10:11], v[12:13], 1.0
	v_fma_f64 v[12:13], v[12:13], v[14:15], v[12:13]
	v_mul_f64 v[14:15], v[16:17], v[12:13]
	v_fma_f64 v[10:11], -v[10:11], v[14:15], v[16:17]
	v_div_fmas_f64 v[10:11], v[10:11], v[12:13], v[14:15]
	v_div_fixup_f64 v[2:3], v[10:11], v[2:3], 1.0
	s_waitcnt vmcnt(2)
	v_mul_f64 v[4:5], v[4:5], v[2:3]
	s_waitcnt vmcnt(1)
	v_mul_f64 v[6:7], v[2:3], v[6:7]
	;; [unrolled: 2-line block ×3, first 2 shown]
	s_waitcnt lgkmcnt(0)
	v_add_co_u32 v8, vcc_lo, s0, v0
	v_add_co_ci_u32_e64 v9, null, s1, v1, vcc_lo
	v_add_co_u32 v10, vcc_lo, s2, v0
	v_add_co_ci_u32_e64 v11, null, s3, v1, vcc_lo
	;; [unrolled: 2-line block ×3, first 2 shown]
	global_store_dwordx2 v[8:9], v[4:5], off
	global_store_dwordx2 v[10:11], v[6:7], off
	;; [unrolled: 1-line block ×3, first 2 shown]
.LBB6_2:
	s_endpgm
	.section	.rodata,"a",@progbits
	.p2align	6, 0x0
	.amdhsa_kernel _Z19accelerationForNodePKdS0_S0_S0_PdS1_S1_i
		.amdhsa_group_segment_fixed_size 0
		.amdhsa_private_segment_fixed_size 0
		.amdhsa_kernarg_size 320
		.amdhsa_user_sgpr_count 6
		.amdhsa_user_sgpr_private_segment_buffer 1
		.amdhsa_user_sgpr_dispatch_ptr 0
		.amdhsa_user_sgpr_queue_ptr 0
		.amdhsa_user_sgpr_kernarg_segment_ptr 1
		.amdhsa_user_sgpr_dispatch_id 0
		.amdhsa_user_sgpr_flat_scratch_init 0
		.amdhsa_user_sgpr_private_segment_size 0
		.amdhsa_wavefront_size32 1
		.amdhsa_uses_dynamic_stack 0
		.amdhsa_system_sgpr_private_segment_wavefront_offset 0
		.amdhsa_system_sgpr_workgroup_id_x 1
		.amdhsa_system_sgpr_workgroup_id_y 0
		.amdhsa_system_sgpr_workgroup_id_z 0
		.amdhsa_system_sgpr_workgroup_info 0
		.amdhsa_system_vgpr_workitem_id 0
		.amdhsa_next_free_vgpr 18
		.amdhsa_next_free_sgpr 16
		.amdhsa_reserve_vcc 1
		.amdhsa_reserve_flat_scratch 0
		.amdhsa_float_round_mode_32 0
		.amdhsa_float_round_mode_16_64 0
		.amdhsa_float_denorm_mode_32 3
		.amdhsa_float_denorm_mode_16_64 3
		.amdhsa_dx10_clamp 1
		.amdhsa_ieee_mode 1
		.amdhsa_fp16_overflow 0
		.amdhsa_workgroup_processor_mode 1
		.amdhsa_memory_ordered 1
		.amdhsa_forward_progress 1
		.amdhsa_shared_vgpr_count 0
		.amdhsa_exception_fp_ieee_invalid_op 0
		.amdhsa_exception_fp_denorm_src 0
		.amdhsa_exception_fp_ieee_div_zero 0
		.amdhsa_exception_fp_ieee_overflow 0
		.amdhsa_exception_fp_ieee_underflow 0
		.amdhsa_exception_fp_ieee_inexact 0
		.amdhsa_exception_int_div_zero 0
	.end_amdhsa_kernel
	.text
.Lfunc_end6:
	.size	_Z19accelerationForNodePKdS0_S0_S0_PdS1_S1_i, .Lfunc_end6-_Z19accelerationForNodePKdS0_S0_S0_PdS1_S1_i
                                        ; -- End function
	.set _Z19accelerationForNodePKdS0_S0_S0_PdS1_S1_i.num_vgpr, 18
	.set _Z19accelerationForNodePKdS0_S0_S0_PdS1_S1_i.num_agpr, 0
	.set _Z19accelerationForNodePKdS0_S0_S0_PdS1_S1_i.numbered_sgpr, 16
	.set _Z19accelerationForNodePKdS0_S0_S0_PdS1_S1_i.num_named_barrier, 0
	.set _Z19accelerationForNodePKdS0_S0_S0_PdS1_S1_i.private_seg_size, 0
	.set _Z19accelerationForNodePKdS0_S0_S0_PdS1_S1_i.uses_vcc, 1
	.set _Z19accelerationForNodePKdS0_S0_S0_PdS1_S1_i.uses_flat_scratch, 0
	.set _Z19accelerationForNodePKdS0_S0_S0_PdS1_S1_i.has_dyn_sized_stack, 0
	.set _Z19accelerationForNodePKdS0_S0_S0_PdS1_S1_i.has_recursion, 0
	.set _Z19accelerationForNodePKdS0_S0_S0_PdS1_S1_i.has_indirect_call, 0
	.section	.AMDGPU.csdata,"",@progbits
; Kernel info:
; codeLenInByte = 400
; TotalNumSgprs: 18
; NumVgprs: 18
; ScratchSize: 0
; MemoryBound: 0
; FloatMode: 240
; IeeeMode: 1
; LDSByteSize: 0 bytes/workgroup (compile time only)
; SGPRBlocks: 0
; VGPRBlocks: 2
; NumSGPRsForWavesPerEU: 18
; NumVGPRsForWavesPerEU: 18
; Occupancy: 16
; WaveLimiterHint : 0
; COMPUTE_PGM_RSRC2:SCRATCH_EN: 0
; COMPUTE_PGM_RSRC2:USER_SGPR: 6
; COMPUTE_PGM_RSRC2:TRAP_HANDLER: 0
; COMPUTE_PGM_RSRC2:TGID_X_EN: 1
; COMPUTE_PGM_RSRC2:TGID_Y_EN: 0
; COMPUTE_PGM_RSRC2:TGID_Z_EN: 0
; COMPUTE_PGM_RSRC2:TIDIG_COMP_CNT: 0
	.text
	.protected	_Z43applyAccelerationBoundaryConditionsForNodesPKiS0_S0_PdS1_S1_iiii ; -- Begin function _Z43applyAccelerationBoundaryConditionsForNodesPKiS0_S0_PdS1_S1_iiii
	.globl	_Z43applyAccelerationBoundaryConditionsForNodesPKiS0_S0_PdS1_S1_iiii
	.p2align	8
	.type	_Z43applyAccelerationBoundaryConditionsForNodesPKiS0_S0_PdS1_S1_iiii,@function
_Z43applyAccelerationBoundaryConditionsForNodesPKiS0_S0_PdS1_S1_iiii: ; @_Z43applyAccelerationBoundaryConditionsForNodesPKiS0_S0_PdS1_S1_iiii
; %bb.0:
	s_clause 0x1
	s_load_dword s7, s[4:5], 0x4c
	s_load_dwordx4 s[0:3], s[4:5], 0x30
	s_waitcnt lgkmcnt(0)
	s_and_b32 s7, s7, 0xffff
	v_mad_u64_u32 v[0:1], null, s6, s7, v[0:1]
	v_cmp_gt_i32_e32 vcc_lo, s3, v0
	s_and_saveexec_b32 s3, vcc_lo
	s_cbranch_execz .LBB7_4
; %bb.1:
	s_cmp_lg_u32 s0, 0
	s_cbranch_scc0 .LBB7_5
; %bb.2:
	s_cmp_lg_u32 s1, 0
	s_cbranch_scc0 .LBB7_6
.LBB7_3:
	s_cmp_lg_u32 s2, 0
	s_cbranch_scc0 .LBB7_7
.LBB7_4:
	s_endpgm
.LBB7_5:
	s_clause 0x1
	s_load_dwordx2 s[6:7], s[4:5], 0x0
	s_load_dwordx2 s[8:9], s[4:5], 0x18
	v_ashrrev_i32_e32 v1, 31, v0
	v_mov_b32_e32 v3, 0
	v_lshlrev_b64 v[1:2], 2, v[0:1]
	v_mov_b32_e32 v4, v3
	s_waitcnt lgkmcnt(0)
	v_add_co_u32 v1, vcc_lo, s6, v1
	v_add_co_ci_u32_e64 v2, null, s7, v2, vcc_lo
	global_load_dword v1, v[1:2], off
	s_waitcnt vmcnt(0)
	v_ashrrev_i32_e32 v2, 31, v1
	v_lshlrev_b64 v[1:2], 3, v[1:2]
	v_add_co_u32 v1, vcc_lo, s8, v1
	v_add_co_ci_u32_e64 v2, null, s9, v2, vcc_lo
	global_store_dwordx2 v[1:2], v[3:4], off
	s_cmp_lg_u32 s1, 0
	s_cbranch_scc1 .LBB7_3
.LBB7_6:
	s_clause 0x1
	s_load_dwordx2 s[0:1], s[4:5], 0x8
	s_load_dwordx2 s[6:7], s[4:5], 0x20
	v_ashrrev_i32_e32 v1, 31, v0
	v_mov_b32_e32 v3, 0
	v_lshlrev_b64 v[1:2], 2, v[0:1]
	v_mov_b32_e32 v4, v3
	s_waitcnt lgkmcnt(0)
	v_add_co_u32 v1, vcc_lo, s0, v1
	v_add_co_ci_u32_e64 v2, null, s1, v2, vcc_lo
	global_load_dword v1, v[1:2], off
	s_waitcnt vmcnt(0)
	v_ashrrev_i32_e32 v2, 31, v1
	v_lshlrev_b64 v[1:2], 3, v[1:2]
	v_add_co_u32 v1, vcc_lo, s6, v1
	v_add_co_ci_u32_e64 v2, null, s7, v2, vcc_lo
	global_store_dwordx2 v[1:2], v[3:4], off
	s_cmp_lg_u32 s2, 0
	s_cbranch_scc1 .LBB7_4
.LBB7_7:
	s_clause 0x1
	s_load_dwordx2 s[0:1], s[4:5], 0x10
	s_load_dwordx2 s[2:3], s[4:5], 0x28
	v_ashrrev_i32_e32 v1, 31, v0
	v_mov_b32_e32 v2, 0
	v_lshlrev_b64 v[0:1], 2, v[0:1]
	v_mov_b32_e32 v3, v2
	s_waitcnt lgkmcnt(0)
	v_add_co_u32 v0, vcc_lo, s0, v0
	v_add_co_ci_u32_e64 v1, null, s1, v1, vcc_lo
	global_load_dword v0, v[0:1], off
	s_waitcnt vmcnt(0)
	v_ashrrev_i32_e32 v1, 31, v0
	v_lshlrev_b64 v[0:1], 3, v[0:1]
	v_add_co_u32 v0, vcc_lo, s2, v0
	v_add_co_ci_u32_e64 v1, null, s3, v1, vcc_lo
	global_store_dwordx2 v[0:1], v[2:3], off
	s_endpgm
	.section	.rodata,"a",@progbits
	.p2align	6, 0x0
	.amdhsa_kernel _Z43applyAccelerationBoundaryConditionsForNodesPKiS0_S0_PdS1_S1_iiii
		.amdhsa_group_segment_fixed_size 0
		.amdhsa_private_segment_fixed_size 0
		.amdhsa_kernarg_size 320
		.amdhsa_user_sgpr_count 6
		.amdhsa_user_sgpr_private_segment_buffer 1
		.amdhsa_user_sgpr_dispatch_ptr 0
		.amdhsa_user_sgpr_queue_ptr 0
		.amdhsa_user_sgpr_kernarg_segment_ptr 1
		.amdhsa_user_sgpr_dispatch_id 0
		.amdhsa_user_sgpr_flat_scratch_init 0
		.amdhsa_user_sgpr_private_segment_size 0
		.amdhsa_wavefront_size32 1
		.amdhsa_uses_dynamic_stack 0
		.amdhsa_system_sgpr_private_segment_wavefront_offset 0
		.amdhsa_system_sgpr_workgroup_id_x 1
		.amdhsa_system_sgpr_workgroup_id_y 0
		.amdhsa_system_sgpr_workgroup_id_z 0
		.amdhsa_system_sgpr_workgroup_info 0
		.amdhsa_system_vgpr_workitem_id 0
		.amdhsa_next_free_vgpr 5
		.amdhsa_next_free_sgpr 10
		.amdhsa_reserve_vcc 1
		.amdhsa_reserve_flat_scratch 0
		.amdhsa_float_round_mode_32 0
		.amdhsa_float_round_mode_16_64 0
		.amdhsa_float_denorm_mode_32 3
		.amdhsa_float_denorm_mode_16_64 3
		.amdhsa_dx10_clamp 1
		.amdhsa_ieee_mode 1
		.amdhsa_fp16_overflow 0
		.amdhsa_workgroup_processor_mode 1
		.amdhsa_memory_ordered 1
		.amdhsa_forward_progress 1
		.amdhsa_shared_vgpr_count 0
		.amdhsa_exception_fp_ieee_invalid_op 0
		.amdhsa_exception_fp_denorm_src 0
		.amdhsa_exception_fp_ieee_div_zero 0
		.amdhsa_exception_fp_ieee_overflow 0
		.amdhsa_exception_fp_ieee_underflow 0
		.amdhsa_exception_fp_ieee_inexact 0
		.amdhsa_exception_int_div_zero 0
	.end_amdhsa_kernel
	.text
.Lfunc_end7:
	.size	_Z43applyAccelerationBoundaryConditionsForNodesPKiS0_S0_PdS1_S1_iiii, .Lfunc_end7-_Z43applyAccelerationBoundaryConditionsForNodesPKiS0_S0_PdS1_S1_iiii
                                        ; -- End function
	.set _Z43applyAccelerationBoundaryConditionsForNodesPKiS0_S0_PdS1_S1_iiii.num_vgpr, 5
	.set _Z43applyAccelerationBoundaryConditionsForNodesPKiS0_S0_PdS1_S1_iiii.num_agpr, 0
	.set _Z43applyAccelerationBoundaryConditionsForNodesPKiS0_S0_PdS1_S1_iiii.numbered_sgpr, 10
	.set _Z43applyAccelerationBoundaryConditionsForNodesPKiS0_S0_PdS1_S1_iiii.num_named_barrier, 0
	.set _Z43applyAccelerationBoundaryConditionsForNodesPKiS0_S0_PdS1_S1_iiii.private_seg_size, 0
	.set _Z43applyAccelerationBoundaryConditionsForNodesPKiS0_S0_PdS1_S1_iiii.uses_vcc, 1
	.set _Z43applyAccelerationBoundaryConditionsForNodesPKiS0_S0_PdS1_S1_iiii.uses_flat_scratch, 0
	.set _Z43applyAccelerationBoundaryConditionsForNodesPKiS0_S0_PdS1_S1_iiii.has_dyn_sized_stack, 0
	.set _Z43applyAccelerationBoundaryConditionsForNodesPKiS0_S0_PdS1_S1_iiii.has_recursion, 0
	.set _Z43applyAccelerationBoundaryConditionsForNodesPKiS0_S0_PdS1_S1_iiii.has_indirect_call, 0
	.section	.AMDGPU.csdata,"",@progbits
; Kernel info:
; codeLenInByte = 424
; TotalNumSgprs: 12
; NumVgprs: 5
; ScratchSize: 0
; MemoryBound: 0
; FloatMode: 240
; IeeeMode: 1
; LDSByteSize: 0 bytes/workgroup (compile time only)
; SGPRBlocks: 0
; VGPRBlocks: 0
; NumSGPRsForWavesPerEU: 12
; NumVGPRsForWavesPerEU: 5
; Occupancy: 16
; WaveLimiterHint : 1
; COMPUTE_PGM_RSRC2:SCRATCH_EN: 0
; COMPUTE_PGM_RSRC2:USER_SGPR: 6
; COMPUTE_PGM_RSRC2:TRAP_HANDLER: 0
; COMPUTE_PGM_RSRC2:TGID_X_EN: 1
; COMPUTE_PGM_RSRC2:TGID_Y_EN: 0
; COMPUTE_PGM_RSRC2:TGID_Z_EN: 0
; COMPUTE_PGM_RSRC2:TIDIG_COMP_CNT: 0
	.text
	.protected	_Z20calcVelocityForNodesPdS_S_PKdS1_S1_ddi ; -- Begin function _Z20calcVelocityForNodesPdS_S_PKdS1_S1_ddi
	.globl	_Z20calcVelocityForNodesPdS_S_PKdS1_S1_ddi
	.p2align	8
	.type	_Z20calcVelocityForNodesPdS_S_PKdS1_S1_ddi,@function
_Z20calcVelocityForNodesPdS_S_PKdS1_S1_ddi: ; @_Z20calcVelocityForNodesPdS_S_PKdS1_S1_ddi
; %bb.0:
	s_clause 0x1
	s_load_dword s0, s[4:5], 0x54
	s_load_dword s1, s[4:5], 0x40
	s_waitcnt lgkmcnt(0)
	s_and_b32 s0, s0, 0xffff
	v_mad_u64_u32 v[0:1], null, s6, s0, v[0:1]
	s_mov_b32 s0, exec_lo
	v_cmpx_gt_i32_e64 s1, v0
	s_cbranch_execz .LBB8_2
; %bb.1:
	s_clause 0x1
	s_load_dwordx8 s[8:15], s[4:5], 0x0
	s_load_dwordx8 s[0:7], s[4:5], 0x20
	v_ashrrev_i32_e32 v1, 31, v0
	v_lshlrev_b64 v[0:1], 3, v[0:1]
	s_waitcnt lgkmcnt(0)
	v_add_co_u32 v2, vcc_lo, s8, v0
	v_add_co_ci_u32_e64 v3, null, s9, v1, vcc_lo
	v_add_co_u32 v4, vcc_lo, s14, v0
	v_add_co_ci_u32_e64 v5, null, s15, v1, vcc_lo
	;; [unrolled: 2-line block ×5, first 2 shown]
	v_add_co_u32 v0, vcc_lo, s2, v0
	global_load_dwordx2 v[12:13], v[2:3], off
	v_add_co_ci_u32_e64 v1, null, s3, v1, vcc_lo
	global_load_dwordx2 v[4:5], v[4:5], off
	global_load_dwordx2 v[14:15], v[6:7], off
	;; [unrolled: 1-line block ×5, first 2 shown]
	s_waitcnt vmcnt(4)
	v_fma_f64 v[4:5], s[4:5], v[4:5], v[12:13]
	s_waitcnt vmcnt(2)
	v_fma_f64 v[8:9], s[4:5], v[8:9], v[14:15]
	;; [unrolled: 2-line block ×3, first 2 shown]
	v_cmp_nlt_f64_e64 vcc_lo, |v[4:5]|, s[6:7]
	v_cmp_nlt_f64_e64 s0, |v[8:9]|, s[6:7]
	v_cmp_nlt_f64_e64 s1, |v[0:1]|, s[6:7]
	v_cndmask_b32_e32 v5, 0, v5, vcc_lo
	v_cndmask_b32_e32 v4, 0, v4, vcc_lo
	v_cndmask_b32_e64 v9, 0, v9, s0
	v_cndmask_b32_e64 v8, 0, v8, s0
	;; [unrolled: 1-line block ×4, first 2 shown]
	global_store_dwordx2 v[2:3], v[4:5], off
	global_store_dwordx2 v[6:7], v[8:9], off
	;; [unrolled: 1-line block ×3, first 2 shown]
.LBB8_2:
	s_endpgm
	.section	.rodata,"a",@progbits
	.p2align	6, 0x0
	.amdhsa_kernel _Z20calcVelocityForNodesPdS_S_PKdS1_S1_ddi
		.amdhsa_group_segment_fixed_size 0
		.amdhsa_private_segment_fixed_size 0
		.amdhsa_kernarg_size 328
		.amdhsa_user_sgpr_count 6
		.amdhsa_user_sgpr_private_segment_buffer 1
		.amdhsa_user_sgpr_dispatch_ptr 0
		.amdhsa_user_sgpr_queue_ptr 0
		.amdhsa_user_sgpr_kernarg_segment_ptr 1
		.amdhsa_user_sgpr_dispatch_id 0
		.amdhsa_user_sgpr_flat_scratch_init 0
		.amdhsa_user_sgpr_private_segment_size 0
		.amdhsa_wavefront_size32 1
		.amdhsa_uses_dynamic_stack 0
		.amdhsa_system_sgpr_private_segment_wavefront_offset 0
		.amdhsa_system_sgpr_workgroup_id_x 1
		.amdhsa_system_sgpr_workgroup_id_y 0
		.amdhsa_system_sgpr_workgroup_id_z 0
		.amdhsa_system_sgpr_workgroup_info 0
		.amdhsa_system_vgpr_workitem_id 0
		.amdhsa_next_free_vgpr 18
		.amdhsa_next_free_sgpr 16
		.amdhsa_reserve_vcc 1
		.amdhsa_reserve_flat_scratch 0
		.amdhsa_float_round_mode_32 0
		.amdhsa_float_round_mode_16_64 0
		.amdhsa_float_denorm_mode_32 3
		.amdhsa_float_denorm_mode_16_64 3
		.amdhsa_dx10_clamp 1
		.amdhsa_ieee_mode 1
		.amdhsa_fp16_overflow 0
		.amdhsa_workgroup_processor_mode 1
		.amdhsa_memory_ordered 1
		.amdhsa_forward_progress 1
		.amdhsa_shared_vgpr_count 0
		.amdhsa_exception_fp_ieee_invalid_op 0
		.amdhsa_exception_fp_denorm_src 0
		.amdhsa_exception_fp_ieee_div_zero 0
		.amdhsa_exception_fp_ieee_overflow 0
		.amdhsa_exception_fp_ieee_underflow 0
		.amdhsa_exception_fp_ieee_inexact 0
		.amdhsa_exception_int_div_zero 0
	.end_amdhsa_kernel
	.text
.Lfunc_end8:
	.size	_Z20calcVelocityForNodesPdS_S_PKdS1_S1_ddi, .Lfunc_end8-_Z20calcVelocityForNodesPdS_S_PKdS1_S1_ddi
                                        ; -- End function
	.set _Z20calcVelocityForNodesPdS_S_PKdS1_S1_ddi.num_vgpr, 18
	.set _Z20calcVelocityForNodesPdS_S_PKdS1_S1_ddi.num_agpr, 0
	.set _Z20calcVelocityForNodesPdS_S_PKdS1_S1_ddi.numbered_sgpr, 16
	.set _Z20calcVelocityForNodesPdS_S_PKdS1_S1_ddi.num_named_barrier, 0
	.set _Z20calcVelocityForNodesPdS_S_PKdS1_S1_ddi.private_seg_size, 0
	.set _Z20calcVelocityForNodesPdS_S_PKdS1_S1_ddi.uses_vcc, 1
	.set _Z20calcVelocityForNodesPdS_S_PKdS1_S1_ddi.uses_flat_scratch, 0
	.set _Z20calcVelocityForNodesPdS_S_PKdS1_S1_ddi.has_dyn_sized_stack, 0
	.set _Z20calcVelocityForNodesPdS_S_PKdS1_S1_ddi.has_recursion, 0
	.set _Z20calcVelocityForNodesPdS_S_PKdS1_S1_ddi.has_indirect_call, 0
	.section	.AMDGPU.csdata,"",@progbits
; Kernel info:
; codeLenInByte = 364
; TotalNumSgprs: 18
; NumVgprs: 18
; ScratchSize: 0
; MemoryBound: 0
; FloatMode: 240
; IeeeMode: 1
; LDSByteSize: 0 bytes/workgroup (compile time only)
; SGPRBlocks: 0
; VGPRBlocks: 2
; NumSGPRsForWavesPerEU: 18
; NumVGPRsForWavesPerEU: 18
; Occupancy: 16
; WaveLimiterHint : 0
; COMPUTE_PGM_RSRC2:SCRATCH_EN: 0
; COMPUTE_PGM_RSRC2:USER_SGPR: 6
; COMPUTE_PGM_RSRC2:TRAP_HANDLER: 0
; COMPUTE_PGM_RSRC2:TGID_X_EN: 1
; COMPUTE_PGM_RSRC2:TGID_Y_EN: 0
; COMPUTE_PGM_RSRC2:TGID_Z_EN: 0
; COMPUTE_PGM_RSRC2:TIDIG_COMP_CNT: 0
	.text
	.protected	_Z20calcPositionForNodesPdS_S_PKdS1_S1_di ; -- Begin function _Z20calcPositionForNodesPdS_S_PKdS1_S1_di
	.globl	_Z20calcPositionForNodesPdS_S_PKdS1_S1_di
	.p2align	8
	.type	_Z20calcPositionForNodesPdS_S_PKdS1_S1_di,@function
_Z20calcPositionForNodesPdS_S_PKdS1_S1_di: ; @_Z20calcPositionForNodesPdS_S_PKdS1_S1_di
; %bb.0:
	s_clause 0x1
	s_load_dword s0, s[4:5], 0x4c
	s_load_dword s1, s[4:5], 0x38
	s_waitcnt lgkmcnt(0)
	s_and_b32 s0, s0, 0xffff
	v_mad_u64_u32 v[0:1], null, s6, s0, v[0:1]
	s_mov_b32 s0, exec_lo
	v_cmpx_gt_i32_e64 s1, v0
	s_cbranch_execz .LBB9_2
; %bb.1:
	s_clause 0x1
	s_load_dwordx8 s[8:15], s[4:5], 0x0
	s_load_dwordx4 s[0:3], s[4:5], 0x20
	v_ashrrev_i32_e32 v1, 31, v0
	s_load_dwordx2 s[4:5], s[4:5], 0x30
	v_lshlrev_b64 v[0:1], 3, v[0:1]
	s_waitcnt lgkmcnt(0)
	v_add_co_u32 v2, vcc_lo, s14, v0
	v_add_co_ci_u32_e64 v3, null, s15, v1, vcc_lo
	v_add_co_u32 v4, vcc_lo, s8, v0
	v_add_co_ci_u32_e64 v5, null, s9, v1, vcc_lo
	;; [unrolled: 2-line block ×5, first 2 shown]
	v_add_co_u32 v0, vcc_lo, s12, v0
	global_load_dwordx2 v[2:3], v[2:3], off
	v_add_co_ci_u32_e64 v1, null, s13, v1, vcc_lo
	global_load_dwordx2 v[12:13], v[4:5], off
	global_load_dwordx2 v[6:7], v[6:7], off
	global_load_dwordx2 v[14:15], v[8:9], off
	global_load_dwordx2 v[10:11], v[10:11], off
	global_load_dwordx2 v[16:17], v[0:1], off
	s_waitcnt vmcnt(4)
	v_fma_f64 v[2:3], s[4:5], v[2:3], v[12:13]
	s_waitcnt vmcnt(2)
	v_fma_f64 v[6:7], s[4:5], v[6:7], v[14:15]
	;; [unrolled: 2-line block ×3, first 2 shown]
	global_store_dwordx2 v[4:5], v[2:3], off
	global_store_dwordx2 v[8:9], v[6:7], off
	;; [unrolled: 1-line block ×3, first 2 shown]
.LBB9_2:
	s_endpgm
	.section	.rodata,"a",@progbits
	.p2align	6, 0x0
	.amdhsa_kernel _Z20calcPositionForNodesPdS_S_PKdS1_S1_di
		.amdhsa_group_segment_fixed_size 0
		.amdhsa_private_segment_fixed_size 0
		.amdhsa_kernarg_size 320
		.amdhsa_user_sgpr_count 6
		.amdhsa_user_sgpr_private_segment_buffer 1
		.amdhsa_user_sgpr_dispatch_ptr 0
		.amdhsa_user_sgpr_queue_ptr 0
		.amdhsa_user_sgpr_kernarg_segment_ptr 1
		.amdhsa_user_sgpr_dispatch_id 0
		.amdhsa_user_sgpr_flat_scratch_init 0
		.amdhsa_user_sgpr_private_segment_size 0
		.amdhsa_wavefront_size32 1
		.amdhsa_uses_dynamic_stack 0
		.amdhsa_system_sgpr_private_segment_wavefront_offset 0
		.amdhsa_system_sgpr_workgroup_id_x 1
		.amdhsa_system_sgpr_workgroup_id_y 0
		.amdhsa_system_sgpr_workgroup_id_z 0
		.amdhsa_system_sgpr_workgroup_info 0
		.amdhsa_system_vgpr_workitem_id 0
		.amdhsa_next_free_vgpr 18
		.amdhsa_next_free_sgpr 16
		.amdhsa_reserve_vcc 1
		.amdhsa_reserve_flat_scratch 0
		.amdhsa_float_round_mode_32 0
		.amdhsa_float_round_mode_16_64 0
		.amdhsa_float_denorm_mode_32 3
		.amdhsa_float_denorm_mode_16_64 3
		.amdhsa_dx10_clamp 1
		.amdhsa_ieee_mode 1
		.amdhsa_fp16_overflow 0
		.amdhsa_workgroup_processor_mode 1
		.amdhsa_memory_ordered 1
		.amdhsa_forward_progress 1
		.amdhsa_shared_vgpr_count 0
		.amdhsa_exception_fp_ieee_invalid_op 0
		.amdhsa_exception_fp_denorm_src 0
		.amdhsa_exception_fp_ieee_div_zero 0
		.amdhsa_exception_fp_ieee_overflow 0
		.amdhsa_exception_fp_ieee_underflow 0
		.amdhsa_exception_fp_ieee_inexact 0
		.amdhsa_exception_int_div_zero 0
	.end_amdhsa_kernel
	.text
.Lfunc_end9:
	.size	_Z20calcPositionForNodesPdS_S_PKdS1_S1_di, .Lfunc_end9-_Z20calcPositionForNodesPdS_S_PKdS1_S1_di
                                        ; -- End function
	.set _Z20calcPositionForNodesPdS_S_PKdS1_S1_di.num_vgpr, 18
	.set _Z20calcPositionForNodesPdS_S_PKdS1_S1_di.num_agpr, 0
	.set _Z20calcPositionForNodesPdS_S_PKdS1_S1_di.numbered_sgpr, 16
	.set _Z20calcPositionForNodesPdS_S_PKdS1_S1_di.num_named_barrier, 0
	.set _Z20calcPositionForNodesPdS_S_PKdS1_S1_di.private_seg_size, 0
	.set _Z20calcPositionForNodesPdS_S_PKdS1_S1_di.uses_vcc, 1
	.set _Z20calcPositionForNodesPdS_S_PKdS1_S1_di.uses_flat_scratch, 0
	.set _Z20calcPositionForNodesPdS_S_PKdS1_S1_di.has_dyn_sized_stack, 0
	.set _Z20calcPositionForNodesPdS_S_PKdS1_S1_di.has_recursion, 0
	.set _Z20calcPositionForNodesPdS_S_PKdS1_S1_di.has_indirect_call, 0
	.section	.AMDGPU.csdata,"",@progbits
; Kernel info:
; codeLenInByte = 308
; TotalNumSgprs: 18
; NumVgprs: 18
; ScratchSize: 0
; MemoryBound: 0
; FloatMode: 240
; IeeeMode: 1
; LDSByteSize: 0 bytes/workgroup (compile time only)
; SGPRBlocks: 0
; VGPRBlocks: 2
; NumSGPRsForWavesPerEU: 18
; NumVGPRsForWavesPerEU: 18
; Occupancy: 16
; WaveLimiterHint : 0
; COMPUTE_PGM_RSRC2:SCRATCH_EN: 0
; COMPUTE_PGM_RSRC2:USER_SGPR: 6
; COMPUTE_PGM_RSRC2:TRAP_HANDLER: 0
; COMPUTE_PGM_RSRC2:TGID_X_EN: 1
; COMPUTE_PGM_RSRC2:TGID_Y_EN: 0
; COMPUTE_PGM_RSRC2:TGID_Z_EN: 0
; COMPUTE_PGM_RSRC2:TIDIG_COMP_CNT: 0
	.text
	.protected	_Z22calcKinematicsForElemsPKdS0_S0_S0_S0_S0_PKiS0_S0_PdS3_S3_S3_S3_S3_di ; -- Begin function _Z22calcKinematicsForElemsPKdS0_S0_S0_S0_S0_PKiS0_S0_PdS3_S3_S3_S3_S3_di
	.globl	_Z22calcKinematicsForElemsPKdS0_S0_S0_S0_S0_PKiS0_S0_PdS3_S3_S3_S3_S3_di
	.p2align	8
	.type	_Z22calcKinematicsForElemsPKdS0_S0_S0_S0_S0_PKiS0_S0_PdS3_S3_S3_S3_S3_di,@function
_Z22calcKinematicsForElemsPKdS0_S0_S0_S0_S0_PKiS0_S0_PdS3_S3_S3_S3_S3_di: ; @_Z22calcKinematicsForElemsPKdS0_S0_S0_S0_S0_PKiS0_S0_PdS3_S3_S3_S3_S3_di
; %bb.0:
	s_mov_b64 s[38:39], s[2:3]
	s_mov_b64 s[36:37], s[0:1]
	s_clause 0x1
	s_load_dword s0, s[4:5], 0x94
	s_load_dword s1, s[4:5], 0x80
	s_add_u32 s36, s36, s7
	s_addc_u32 s37, s37, 0
	s_waitcnt lgkmcnt(0)
	s_and_b32 s0, s0, 0xffff
	v_mad_u64_u32 v[0:1], null, s6, s0, v[0:1]
	s_mov_b32 s0, exec_lo
	v_cmpx_gt_i32_e64 s1, v0
	s_cbranch_execz .LBB10_2
; %bb.1:
	s_load_dwordx8 s[8:15], s[4:5], 0x20
	v_lshlrev_b32_e32 v1, 3, v0
	s_clause 0x1
	s_load_dwordx8 s[16:23], s[4:5], 0x0
	s_load_dwordx8 s[24:31], s[4:5], 0x60
	s_mov_b32 s0, 0x55555555
	s_mov_b32 s1, 0x3fb55555
	v_ashrrev_i32_e32 v2, 31, v1
	v_lshlrev_b64 v[1:2], 2, v[1:2]
	s_waitcnt lgkmcnt(0)
	v_add_co_u32 v27, vcc_lo, s12, v1
	v_add_co_ci_u32_e64 v28, null, s13, v2, vcc_lo
	s_clause 0x5
	global_load_dword v1, v[27:28], off
	global_load_dwordx2 v[25:26], v[27:28], off offset:8
	global_load_dwordx2 v[29:30], v[27:28], off offset:4
	;; [unrolled: 1-line block ×3, first 2 shown]
	global_load_dwordx2 v[35:36], v[27:28], off
	global_load_dwordx2 v[37:38], v[27:28], off offset:24
	s_waitcnt vmcnt(5)
	v_ashrrev_i32_e32 v2, 31, v1
	s_waitcnt vmcnt(4)
	v_ashrrev_i32_e32 v4, 31, v26
	v_mov_b32_e32 v3, v26
	s_waitcnt vmcnt(2)
	v_ashrrev_i32_e32 v8, 31, v32
	v_mov_b32_e32 v7, v32
	v_ashrrev_i32_e32 v6, 31, v30
	v_mov_b32_e32 v5, v30
	v_lshlrev_b64 v[9:10], 3, v[3:4]
	v_lshlrev_b64 v[13:14], 3, v[1:2]
	;; [unrolled: 1-line block ×3, first 2 shown]
	s_waitcnt vmcnt(1)
	v_ashrrev_i32_e32 v20, 31, v36
	v_lshlrev_b64 v[15:16], 3, v[5:6]
	v_mov_b32_e32 v19, v36
	v_add_co_u32 v1, vcc_lo, s22, v9
	v_add_co_ci_u32_e64 v2, null, s23, v10, vcc_lo
	v_add_co_u32 v5, vcc_lo, s22, v17
	v_add_co_ci_u32_e64 v6, null, s23, v18, vcc_lo
	v_add_co_u32 v7, vcc_lo, s10, v13
	v_add_co_ci_u32_e64 v8, null, s11, v14, vcc_lo
	v_add_co_u32 v11, vcc_lo, s10, v15
	v_add_co_ci_u32_e64 v12, null, s11, v16, vcc_lo
	s_clause 0x1
	global_load_dwordx2 v[3:4], v[1:2], off
	global_load_dwordx2 v[5:6], v[5:6], off
	s_clause 0x1
	global_load_dwordx2 v[33:34], v[7:8], off
	global_load_dwordx2 v[23:24], v[11:12], off
	v_add_co_u32 v1, vcc_lo, s22, v15
	v_add_co_ci_u32_e64 v2, null, s23, v16, vcc_lo
	v_add_co_u32 v11, vcc_lo, s10, v9
	v_add_co_ci_u32_e64 v12, null, s11, v10, vcc_lo
	v_add_co_u32 v21, vcc_lo, s10, v17
	v_lshlrev_b64 v[19:20], 3, v[19:20]
	s_waitcnt vmcnt(4)
	v_ashrrev_i32_e32 v8, 31, v38
	v_mov_b32_e32 v7, v38
	v_add_co_ci_u32_e64 v22, null, s11, v18, vcc_lo
	v_add_co_u32 v43, vcc_lo, s22, v13
	v_add_co_ci_u32_e64 v44, null, s23, v14, vcc_lo
	s_clause 0x1
	global_load_dwordx2 v[39:40], v[11:12], off
	global_load_dwordx2 v[41:42], v[21:22], off
	s_clause 0x1
	global_load_dwordx2 v[1:2], v[1:2], off
	global_load_dwordx2 v[11:12], v[43:44], off
	v_lshlrev_b64 v[21:22], 3, v[7:8]
	v_add_co_u32 v7, vcc_lo, s8, v19
	v_add_co_ci_u32_e64 v8, null, s9, v20, vcc_lo
	v_add_co_u32 v15, vcc_lo, s8, v15
	v_add_co_ci_u32_e64 v16, null, s9, v16, vcc_lo
	;; [unrolled: 2-line block ×4, first 2 shown]
	s_clause 0x3
	global_load_dwordx2 v[47:48], v[7:8], off
	global_load_dwordx2 v[45:46], v[15:16], off
	global_load_dwordx2 v[53:54], v[9:10], off
	global_load_dwordx2 v[49:50], v[43:44], off
	v_add_co_u32 v7, vcc_lo, s10, v19
	v_add_co_ci_u32_e64 v8, null, s11, v20, vcc_lo
	v_add_co_u32 v9, vcc_lo, s22, v21
	v_add_co_ci_u32_e64 v10, null, s23, v22, vcc_lo
	global_load_dwordx2 v[43:44], v[7:8], off
	global_load_dwordx2 v[7:8], v[9:10], off
	v_add_co_u32 v9, vcc_lo, s22, v19
	v_add_co_ci_u32_e64 v10, null, s23, v20, vcc_lo
	v_add_co_u32 v13, vcc_lo, s8, v13
	v_add_co_ci_u32_e64 v14, null, s9, v14, vcc_lo
	;; [unrolled: 2-line block ×4, first 2 shown]
	global_load_dwordx2 v[9:10], v[9:10], off
	global_load_dwordx2 v[51:52], v[15:16], off
	s_clause 0x1
	global_load_dwordx2 v[55:56], v[13:14], off
	global_load_dwordx2 v[57:58], v[17:18], off
	s_clause 0x1
	global_load_dwordx2 v[59:60], v[27:28], off offset:12
	global_load_dwordx2 v[71:72], v[27:28], off offset:16
	v_ashrrev_i32_e32 v36, 31, v35
	v_ashrrev_i32_e32 v38, 31, v37
	;; [unrolled: 1-line block ×3, first 2 shown]
	v_lshlrev_b64 v[37:38], 3, v[37:38]
	s_waitcnt vmcnt(18)
	v_add_f64 v[61:62], v[5:6], -v[3:4]
	s_waitcnt vmcnt(16)
	v_add_f64 v[73:74], v[23:24], -v[33:34]
	;; [unrolled: 2-line block ×4, first 2 shown]
	v_mul_f64 v[15:16], v[61:62], v[73:74]
	s_waitcnt vmcnt(9)
	v_add_f64 v[79:80], v[53:54], -v[47:48]
	s_waitcnt vmcnt(8)
	v_add_f64 v[65:66], v[49:50], -v[45:46]
	v_fma_f64 v[15:16], v[77:78], v[63:64], -v[15:16]
	s_waitcnt vmcnt(7)
	v_add_f64 v[105:106], v[41:42], -v[43:44]
	s_waitcnt vmcnt(6)
	v_add_f64 v[69:70], v[7:8], -v[1:2]
	v_add_f64 v[95:96], v[7:8], -v[11:12]
	;; [unrolled: 1-line block ×3, first 2 shown]
	v_add_f64 v[19:20], v[79:80], v[65:66]
	s_waitcnt vmcnt(5)
	v_add_f64 v[83:84], v[3:4], -v[9:10]
	s_waitcnt vmcnt(3)
	v_add_f64 v[81:82], v[45:46], -v[55:56]
	;; [unrolled: 2-line block ×3, first 2 shown]
	v_add_f64 v[99:100], v[49:50], -v[55:56]
	v_add_f64 v[107:108], v[5:6], -v[9:10]
	v_add_f64 v[109:110], v[57:58], -v[47:48]
	v_mul_f64 v[15:16], v[19:20], v[15:16]
	v_add_f64 v[17:18], v[83:84], v[69:70]
	v_mul_f64 v[13:14], v[81:82], v[63:64]
	v_fma_f64 v[13:14], v[67:68], v[73:74], -v[13:14]
	v_fma_f64 v[17:18], v[17:18], v[13:14], v[15:16]
	s_waitcnt vmcnt(1)
	v_ashrrev_i32_e32 v14, 31, v60
	v_mov_b32_e32 v13, v60
	v_lshlrev_b64 v[13:14], 3, v[13:14]
	v_add_co_u32 v15, vcc_lo, s22, v13
	v_add_co_ci_u32_e64 v16, null, s23, v14, vcc_lo
	v_add_co_u32 v19, vcc_lo, s8, v13
	v_add_co_ci_u32_e64 v20, null, s9, v14, vcc_lo
	;; [unrolled: 2-line block ×3, first 2 shown]
	s_waitcnt vmcnt(0)
	v_ashrrev_i32_e32 v14, 31, v72
	v_mov_b32_e32 v13, v72
	v_lshlrev_b64 v[13:14], 3, v[13:14]
	v_add_co_u32 v89, vcc_lo, s22, v13
	v_add_co_ci_u32_e64 v90, null, s23, v14, vcc_lo
	v_add_co_u32 v75, vcc_lo, s8, v13
	v_add_co_ci_u32_e64 v76, null, s9, v14, vcc_lo
	v_add_co_u32 v91, vcc_lo, s10, v13
	v_add_co_ci_u32_e64 v92, null, s11, v14, vcc_lo
	s_clause 0x1
	global_load_dwordx2 v[85:86], v[19:20], off
	global_load_dwordx2 v[87:88], v[75:76], off
	;; [unrolled: 1-line block ×6, first 2 shown]
	v_add_f64 v[91:92], v[51:52], -v[33:34]
	s_load_dwordx8 s[4:11], s[4:5], 0x40
	s_waitcnt vmcnt(5)
	v_add_f64 v[93:94], v[85:86], -v[53:54]
	s_waitcnt vmcnt(4)
	v_add_f64 v[19:20], v[87:88], -v[49:50]
	;; [unrolled: 2-line block ×4, first 2 shown]
	v_add_f64 v[97:98], v[13:14], -v[3:4]
	v_add_f64 v[115:116], v[57:58], -v[85:86]
	;; [unrolled: 1-line block ×3, first 2 shown]
	s_waitcnt vmcnt(0)
	v_add_f64 v[117:118], v[89:90], -v[33:34]
	v_add_f64 v[119:120], v[15:16], -v[11:12]
	;; [unrolled: 1-line block ×3, first 2 shown]
	v_add_f64 v[19:20], v[93:94], v[19:20]
	v_mul_f64 v[21:22], v[111:112], v[91:92]
	v_mul_f64 v[101:102], v[99:100], v[113:114]
	v_fma_f64 v[21:22], v[95:96], v[113:114], -v[21:22]
	v_fma_f64 v[101:102], v[115:116], v[91:92], -v[101:102]
	v_mul_f64 v[19:20], v[19:20], v[21:22]
	v_add_f64 v[21:22], v[15:16], -v[7:8]
	v_add_f64 v[21:22], v[97:98], v[21:22]
	v_fma_f64 v[19:20], v[21:22], v[101:102], v[19:20]
	v_add_f64 v[21:22], v[9:10], -v[13:14]
	v_add_f64 v[101:102], v[1:2], -v[15:16]
	v_add_f64 v[21:22], v[21:22], v[101:102]
	v_add_f64 v[101:102], v[47:48], -v[85:86]
	v_add_f64 v[101:102], v[101:102], v[103:104]
	v_mul_f64 v[103:104], v[107:108], v[117:118]
	v_fma_f64 v[103:104], v[119:120], v[105:106], -v[103:104]
	v_mul_f64 v[101:102], v[101:102], v[103:104]
	v_mul_f64 v[103:104], v[121:122], v[105:106]
	v_fma_f64 v[103:104], v[109:110], v[117:118], -v[103:104]
	v_fma_f64 v[21:22], v[21:22], v[103:104], v[101:102]
	v_mul_f64 v[101:102], v[77:78], v[67:68]
	v_add_f64 v[103:104], v[51:52], -v[23:24]
	v_fma_f64 v[101:102], v[61:62], v[81:82], -v[101:102]
	v_add_f64 v[125:126], v[123:124], v[103:104]
	v_fma_f64 v[17:18], v[101:102], v[125:126], v[17:18]
	buffer_store_dword v17, off, s[36:39], 0 ; 4-byte Folded Spill
	buffer_store_dword v18, off, s[36:39], 0 offset:4 ; 4-byte Folded Spill
	v_add_f64 v[101:102], v[75:76], -v[39:40]
	v_add_f64 v[125:126], v[89:90], -v[51:52]
	v_mul_f64 v[17:18], v[95:96], v[115:116]
	v_add_f64 v[125:126], v[101:102], v[125:126]
	v_fma_f64 v[17:18], v[111:112], v[99:100], -v[17:18]
	v_fma_f64 v[19:20], v[17:18], v[125:126], v[19:20]
	v_add_f64 v[17:18], v[43:44], -v[75:76]
	v_add_f64 v[125:126], v[23:24], -v[89:90]
	v_add_f64 v[17:18], v[17:18], v[125:126]
	v_mul_f64 v[125:126], v[119:120], v[109:110]
	v_fma_f64 v[125:126], v[107:108], v[121:122], -v[125:126]
	v_fma_f64 v[21:22], v[125:126], v[17:18], v[21:22]
	v_add_f64 v[17:18], v[81:82], -v[79:80]
	v_add_f64 v[79:80], v[81:82], v[79:80]
	v_add_f64 v[81:82], v[77:78], -v[83:84]
	v_add_f64 v[77:78], v[77:78], v[83:84]
	;; [unrolled: 2-line block ×3, first 2 shown]
	v_mul_f64 v[123:124], v[17:18], v[17:18]
	v_mul_f64 v[17:18], v[17:18], v[79:80]
	;; [unrolled: 1-line block ×3, first 2 shown]
	v_fma_f64 v[123:124], v[81:82], v[81:82], v[123:124]
	v_fma_f64 v[17:18], v[81:82], v[77:78], v[17:18]
	;; [unrolled: 1-line block ×6, first 2 shown]
	v_add_f64 v[83:84], v[51:52], -v[89:90]
	v_mul_f64 v[17:18], v[17:18], v[17:18]
	v_fma_f64 v[17:18], v[79:80], v[72:73], -v[17:18]
	v_add_f64 v[79:80], v[49:50], -v[87:88]
	v_add_f64 v[72:73], v[7:8], -v[15:16]
	v_max_f64 v[17:18], v[17:18], 0
	v_add_f64 v[81:82], v[115:116], -v[79:80]
	v_add_f64 v[79:80], v[115:116], v[79:80]
	v_add_f64 v[77:78], v[111:112], -v[72:73]
	v_add_f64 v[72:73], v[111:112], v[72:73]
	v_add_f64 v[111:112], v[113:114], -v[83:84]
	v_add_f64 v[83:84], v[113:114], v[83:84]
	v_mul_f64 v[113:114], v[81:82], v[81:82]
	v_mul_f64 v[81:82], v[81:82], v[79:80]
	;; [unrolled: 1-line block ×3, first 2 shown]
	v_fma_f64 v[113:114], v[77:78], v[77:78], v[113:114]
	v_fma_f64 v[77:78], v[77:78], v[72:73], v[81:82]
	v_fma_f64 v[72:73], v[72:73], v[72:73], v[79:80]
	v_add_f64 v[81:82], v[85:86], -v[47:48]
	v_fma_f64 v[79:80], v[111:112], v[111:112], v[113:114]
	v_fma_f64 v[77:78], v[111:112], v[83:84], v[77:78]
	;; [unrolled: 1-line block ×3, first 2 shown]
	v_add_f64 v[83:84], v[121:122], -v[81:82]
	v_add_f64 v[81:82], v[81:82], v[121:122]
	v_add_f64 v[111:112], v[75:76], -v[43:44]
	v_mul_f64 v[77:78], v[77:78], v[77:78]
	v_mul_f64 v[115:116], v[83:84], v[83:84]
	;; [unrolled: 1-line block ×3, first 2 shown]
	v_add_f64 v[113:114], v[117:118], -v[111:112]
	v_add_f64 v[111:112], v[111:112], v[117:118]
	v_mul_f64 v[81:82], v[81:82], v[81:82]
	v_fma_f64 v[72:73], v[79:80], v[72:73], -v[77:78]
	v_add_f64 v[77:78], v[13:14], -v[9:10]
	v_cmp_gt_f64_e32 vcc_lo, v[72:73], v[17:18]
	v_add_f64 v[79:80], v[119:120], -v[77:78]
	v_add_f64 v[77:78], v[77:78], v[119:120]
	v_cndmask_b32_e32 v18, v18, v73, vcc_lo
	v_fma_f64 v[115:116], v[79:80], v[79:80], v[115:116]
	v_fma_f64 v[79:80], v[79:80], v[77:78], v[83:84]
	;; [unrolled: 1-line block ×3, first 2 shown]
	v_cndmask_b32_e32 v17, v17, v72, vcc_lo
	v_add_f64 v[72:73], v[15:16], -v[1:2]
	v_fma_f64 v[81:82], v[113:114], v[113:114], v[115:116]
	v_fma_f64 v[79:80], v[113:114], v[111:112], v[79:80]
	;; [unrolled: 1-line block ×3, first 2 shown]
	v_mul_f64 v[79:80], v[79:80], v[79:80]
	v_fma_f64 v[77:78], v[81:82], v[77:78], -v[79:80]
	v_add_f64 v[81:82], v[87:88], -v[45:46]
	v_add_f64 v[79:80], v[107:108], -v[72:73]
	v_add_f64 v[72:73], v[72:73], v[107:108]
	v_add_f64 v[107:108], v[89:90], -v[23:24]
	v_cmp_gt_f64_e32 vcc_lo, v[77:78], v[17:18]
	v_add_f64 v[83:84], v[109:110], -v[81:82]
	v_add_f64 v[81:82], v[81:82], v[109:110]
	v_add_f64 v[109:110], v[105:106], -v[107:108]
	v_add_f64 v[105:106], v[107:108], v[105:106]
	v_cndmask_b32_e32 v18, v18, v78, vcc_lo
	v_mul_f64 v[107:108], v[83:84], v[83:84]
	v_mul_f64 v[83:84], v[83:84], v[81:82]
	;; [unrolled: 1-line block ×3, first 2 shown]
	v_cndmask_b32_e32 v17, v17, v77, vcc_lo
	v_add_f64 v[77:78], v[65:66], -v[67:68]
	v_add_f64 v[65:66], v[67:68], v[65:66]
	v_add_f64 v[67:68], v[69:70], -v[61:62]
	v_add_f64 v[60:61], v[61:62], v[69:70]
	;; [unrolled: 2-line block ×3, first 2 shown]
	v_fma_f64 v[107:108], v[79:80], v[79:80], v[107:108]
	v_fma_f64 v[79:80], v[79:80], v[72:73], v[83:84]
	;; [unrolled: 1-line block ×6, first 2 shown]
	v_mul_f64 v[79:80], v[79:80], v[79:80]
	v_fma_f64 v[72:73], v[81:82], v[72:73], -v[79:80]
	v_mul_f64 v[79:80], v[77:78], v[77:78]
	v_mul_f64 v[77:78], v[77:78], v[65:66]
	;; [unrolled: 1-line block ×3, first 2 shown]
	v_cmp_gt_f64_e32 vcc_lo, v[72:73], v[17:18]
	v_fma_f64 v[79:80], v[67:68], v[67:68], v[79:80]
	v_fma_f64 v[67:68], v[67:68], v[60:61], v[77:78]
	;; [unrolled: 1-line block ×3, first 2 shown]
	v_add_f64 v[77:78], v[101:102], v[91:92]
	v_cndmask_b32_e32 v18, v18, v73, vcc_lo
	v_cndmask_b32_e32 v17, v17, v72, vcc_lo
	v_fma_f64 v[64:65], v[69:70], v[62:63], v[67:68]
	v_fma_f64 v[66:67], v[69:70], v[69:70], v[79:80]
	;; [unrolled: 1-line block ×3, first 2 shown]
	v_add_f64 v[68:69], v[97:98], v[95:96]
	v_add_f64 v[72:73], v[101:102], -v[91:92]
	v_mul_f64 v[62:63], v[64:65], v[64:65]
	v_add_f64 v[64:65], v[93:94], v[99:100]
	v_fma_f64 v[60:61], v[66:67], v[60:61], -v[62:63]
	v_add_f64 v[62:63], v[93:94], -v[99:100]
	v_add_f64 v[66:67], v[97:98], -v[95:96]
	v_cmp_gt_f64_e32 vcc_lo, v[60:61], v[17:18]
	v_mul_f64 v[79:80], v[62:63], v[62:63]
	v_mul_f64 v[62:63], v[62:63], v[64:65]
	;; [unrolled: 1-line block ×3, first 2 shown]
	v_cndmask_b32_e32 v18, v18, v61, vcc_lo
	v_fma_f64 v[79:80], v[66:67], v[66:67], v[79:80]
	v_fma_f64 v[62:63], v[66:67], v[68:69], v[62:63]
	;; [unrolled: 1-line block ×3, first 2 shown]
	v_cndmask_b32_e32 v17, v17, v60, vcc_lo
	v_ashrrev_i32_e32 v60, 31, v59
	v_lshlrev_b64 v[81:82], 3, v[59:60]
	v_fma_f64 v[66:67], v[72:73], v[72:73], v[79:80]
	v_fma_f64 v[62:63], v[72:73], v[77:78], v[62:63]
	;; [unrolled: 1-line block ×3, first 2 shown]
	v_lshlrev_b64 v[79:80], 3, v[31:32]
	v_ashrrev_i32_e32 v72, 31, v71
	v_lshlrev_b64 v[83:84], 3, v[71:72]
	v_mul_f64 v[62:63], v[62:63], v[62:63]
	v_fma_f64 v[77:78], v[66:67], v[64:65], -v[62:63]
	v_lshlrev_b64 v[67:68], 3, v[35:36]
	v_mul_f64 v[65:66], s[30:31], 0.5
	v_add_co_u32 v35, vcc_lo, s18, v67
	v_add_co_ci_u32_e64 v36, null, s19, v68, vcc_lo
	v_add_co_u32 v63, vcc_lo, s18, v37
	v_add_co_ci_u32_e64 v64, null, s19, v38, vcc_lo
	s_clause 0x1
	global_load_dwordx2 v[61:62], v[35:36], off
	global_load_dwordx2 v[63:64], v[63:64], off
	v_add_co_u32 v30, vcc_lo, s18, v81
	v_add_co_ci_u32_e64 v31, null, s19, v82, vcc_lo
	s_waitcnt vmcnt(1)
	v_fma_f64 v[35:36], -v[65:66], v[61:62], v[55:56]
	s_waitcnt vmcnt(0)
	v_fma_f64 v[55:56], -v[65:66], v[63:64], v[57:58]
	v_add_co_u32 v57, vcc_lo, s18, v79
	v_add_co_ci_u32_e64 v58, null, s19, v80, vcc_lo
	v_add_f64 v[35:36], v[55:56], -v[35:36]
	s_clause 0x1
	global_load_dwordx2 v[55:56], v[30:31], off
	global_load_dwordx2 v[57:58], v[57:58], off
	global_load_dword v26, v[27:28], off offset:28
	s_waitcnt vmcnt(2)
	v_fma_f64 v[30:31], -v[65:66], v[55:56], v[53:54]
	s_waitcnt vmcnt(1)
	v_fma_f64 v[53:54], -v[65:66], v[57:58], v[87:88]
	s_waitcnt vmcnt(0)
	v_ashrrev_i32_e32 v27, 31, v26
	v_lshlrev_b64 v[91:92], 3, v[26:27]
	v_add_f64 v[69:70], v[53:54], -v[30:31]
	v_ashrrev_i32_e32 v30, 31, v29
	v_lshlrev_b64 v[73:74], 3, v[29:30]
	v_add_co_u32 v26, vcc_lo, s18, v73
	v_add_co_ci_u32_e64 v27, null, s19, v74, vcc_lo
	v_add_co_u32 v28, vcc_lo, s18, v91
	v_add_co_ci_u32_e64 v29, null, s19, v92, vcc_lo
	s_clause 0x1
	global_load_dwordx2 v[53:54], v[26:27], off
	global_load_dwordx2 v[59:60], v[28:29], off
	s_waitcnt vmcnt(1)
	v_fma_f64 v[26:27], -v[65:66], v[53:54], v[47:48]
	s_waitcnt vmcnt(0)
	v_fma_f64 v[28:29], -v[65:66], v[59:60], v[49:50]
	v_add_f64 v[53:54], v[53:54], -v[59:60]
	v_add_f64 v[93:94], v[28:29], -v[26:27]
	v_ashrrev_i32_e32 v26, 31, v25
	v_lshlrev_b64 v[87:88], 3, v[25:26]
	v_add_co_u32 v25, vcc_lo, s18, v87
	v_add_co_ci_u32_e64 v26, null, s19, v88, vcc_lo
	v_add_co_u32 v27, vcc_lo, s18, v83
	v_add_co_ci_u32_e64 v28, null, s19, v84, vcc_lo
	s_clause 0x1
	global_load_dwordx2 v[47:48], v[25:26], off
	global_load_dwordx2 v[49:50], v[27:28], off
	s_waitcnt vmcnt(1)
	v_fma_f64 v[25:26], -v[65:66], v[47:48], v[45:46]
	s_waitcnt vmcnt(0)
	v_fma_f64 v[27:28], -v[65:66], v[49:50], v[85:86]
	v_add_f64 v[45:46], v[27:28], -v[25:26]
	v_add_co_u32 v25, vcc_lo, s20, v67
	v_add_co_ci_u32_e64 v26, null, s21, v68, vcc_lo
	v_add_co_u32 v27, vcc_lo, s20, v37
	v_add_co_ci_u32_e64 v28, null, s21, v38, vcc_lo
	s_clause 0x1
	global_load_dwordx2 v[29:30], v[25:26], off
	global_load_dwordx2 v[31:32], v[27:28], off
	s_waitcnt vmcnt(1)
	v_fma_f64 v[25:26], -v[65:66], v[29:30], v[33:34]
	s_waitcnt vmcnt(0)
	v_fma_f64 v[27:28], -v[65:66], v[31:32], v[41:42]
	v_add_f64 v[29:30], v[29:30], -v[31:32]
	v_add_f64 v[33:34], v[27:28], -v[25:26]
	v_add_co_u32 v25, vcc_lo, s20, v81
	v_add_co_ci_u32_e64 v26, null, s21, v82, vcc_lo
	v_add_co_u32 v27, vcc_lo, s20, v79
	v_add_co_ci_u32_e64 v28, null, s21, v80, vcc_lo
	s_clause 0x1
	global_load_dwordx2 v[25:26], v[25:26], off
	global_load_dwordx2 v[27:28], v[27:28], off
	s_waitcnt vmcnt(1)
	v_fma_f64 v[39:40], -v[65:66], v[25:26], v[39:40]
	s_waitcnt vmcnt(0)
	v_fma_f64 v[41:42], -v[65:66], v[27:28], v[89:90]
	v_add_f64 v[71:72], v[41:42], -v[39:40]
	v_add_co_u32 v39, vcc_lo, s20, v73
	v_add_co_ci_u32_e64 v40, null, s21, v74, vcc_lo
	v_add_co_u32 v41, vcc_lo, s20, v91
	v_add_co_ci_u32_e64 v42, null, s21, v92, vcc_lo
	s_clause 0x1
	global_load_dwordx2 v[39:40], v[39:40], off
	global_load_dwordx2 v[41:42], v[41:42], off
	v_add_f64 v[85:86], v[71:72], v[33:34]
	v_add_f64 v[71:72], v[33:34], -v[71:72]
	v_add_co_u32 v33, vcc_lo, s20, v87
	v_add_co_ci_u32_e64 v34, null, s21, v88, vcc_lo
	s_waitcnt vmcnt(1)
	v_fma_f64 v[43:44], -v[65:66], v[39:40], v[43:44]
	s_waitcnt vmcnt(0)
	v_fma_f64 v[51:52], -v[65:66], v[41:42], v[51:52]
	v_add_f64 v[39:40], v[39:40], -v[41:42]
	v_add_f64 v[43:44], v[51:52], -v[43:44]
	v_add_f64 v[51:52], v[69:70], v[35:36]
	v_add_f64 v[69:70], v[35:36], -v[69:70]
	v_add_co_u32 v35, vcc_lo, s20, v83
	v_add_co_ci_u32_e64 v36, null, s21, v84, vcc_lo
	s_clause 0x1
	global_load_dwordx2 v[33:34], v[33:34], off
	global_load_dwordx2 v[35:36], v[35:36], off
	v_add_f64 v[89:90], v[85:86], -v[43:44]
	v_add_f64 v[71:72], v[71:72], v[43:44]
	v_add_f64 v[69:70], v[69:70], v[93:94]
	;; [unrolled: 1-line block ×3, first 2 shown]
	s_waitcnt vmcnt(1)
	v_fma_f64 v[23:24], -v[65:66], v[33:34], v[23:24]
	s_waitcnt vmcnt(0)
	v_fma_f64 v[75:76], -v[65:66], v[35:36], v[75:76]
	v_add_f64 v[33:34], v[33:34], -v[35:36]
	v_add_f64 v[23:24], v[75:76], -v[23:24]
	;; [unrolled: 1-line block ×3, first 2 shown]
	v_add_f64 v[51:52], v[51:52], v[93:94]
	v_add_co_u32 v93, vcc_lo, s16, v67
	v_add_co_ci_u32_e64 v94, null, s17, v68, vcc_lo
	v_add_co_u32 v67, vcc_lo, s16, v73
	v_add_co_ci_u32_e64 v68, null, s17, v74, vcc_lo
	;; [unrolled: 2-line block ×4, first 2 shown]
	v_cmp_gt_f64_e32 vcc_lo, v[77:78], v[17:18]
	v_add_f64 v[91:92], v[89:90], -v[23:24]
	s_clause 0x1
	global_load_dwordx2 v[85:86], v[67:68], off
	global_load_dwordx2 v[89:90], v[37:38], off
	v_add_f64 v[73:74], v[75:76], -v[45:46]
	v_add_f64 v[75:76], v[69:70], -v[45:46]
	v_add_f64 v[45:46], v[45:46], v[51:52]
	v_add_f64 v[51:52], v[71:72], -v[23:24]
	v_add_f64 v[23:24], v[23:24], v[43:44]
	v_cndmask_b32_e32 v78, v18, v78, vcc_lo
	v_cndmask_b32_e32 v77, v17, v77, vcc_lo
	v_add_co_u32 v17, vcc_lo, s16, v87
	v_add_co_ci_u32_e64 v18, null, s17, v88, vcc_lo
	v_ldexp_f64 v[69:70], v[73:74], -3
	v_ldexp_f64 v[71:72], v[45:46], -3
	;; [unrolled: 1-line block ×6, first 2 shown]
	v_add_co_u32 v81, vcc_lo, s16, v81
	v_add_co_ci_u32_e64 v82, null, s17, v82, vcc_lo
	v_add_co_u32 v83, vcc_lo, s16, v83
	v_add_co_ci_u32_e64 v84, null, s17, v84, vcc_lo
	;; [unrolled: 2-line block ×3, first 2 shown]
	v_cmp_gt_f64_e32 vcc_lo, 0x10000000, v[77:78]
	v_mul_f64 v[23:24], v[71:72], v[51:52]
	v_fma_f64 v[43:44], v[67:68], v[73:74], -v[23:24]
	v_mul_f64 v[23:24], v[69:70], v[73:74]
	v_fma_f64 v[45:46], v[71:72], v[75:76], -v[23:24]
	;; [unrolled: 2-line block ×3, first 2 shown]
	v_add_f64 v[23:24], v[43:44], -v[45:46]
	v_add_f64 v[23:24], v[23:24], -v[37:38]
	s_waitcnt vmcnt(1)
	v_fma_f64 v[9:10], -v[65:66], v[85:86], v[9:10]
	s_waitcnt vmcnt(0)
	v_add_f64 v[91:92], v[85:86], -v[89:90]
	v_fma_f64 v[7:8], -v[65:66], v[89:90], v[7:8]
	v_mul_f64 v[23:24], v[91:92], v[23:24]
	s_clause 0x1
	global_load_dwordx2 v[91:92], v[93:94], off
	global_load_dwordx2 v[93:94], v[95:96], off
	v_add_f64 v[7:8], v[7:8], -v[9:10]
	v_add_f64 v[95:96], -v[43:44], -v[45:46]
	v_add_f64 v[95:96], v[95:96], -v[37:38]
	s_waitcnt vmcnt(1)
	v_fma_f64 v[11:12], -v[65:66], v[91:92], v[11:12]
	s_waitcnt vmcnt(0)
	v_fma_f64 v[5:6], -v[65:66], v[93:94], v[5:6]
	v_add_f64 v[97:98], v[91:92], -v[93:94]
	v_add_f64 v[5:6], v[5:6], -v[11:12]
	s_clause 0x1
	global_load_dwordx2 v[11:12], v[81:82], off
	global_load_dwordx2 v[79:80], v[79:80], off
	v_fma_f64 v[23:24], v[97:98], v[95:96], v[23:24]
	s_waitcnt vmcnt(1)
	v_fma_f64 v[3:4], -v[65:66], v[11:12], v[3:4]
	s_waitcnt vmcnt(0)
	v_fma_f64 v[15:16], -v[65:66], v[79:80], v[15:16]
	v_add_f64 v[3:4], v[15:16], -v[3:4]
	s_clause 0x1
	global_load_dwordx2 v[15:16], v[17:18], off
	global_load_dwordx2 v[17:18], v[83:84], off
	v_add_f64 v[9:10], v[5:6], -v[3:4]
	v_add_f64 v[3:4], v[3:4], v[5:6]
	v_add_f64 v[5:6], v[61:62], -v[63:64]
	v_add_f64 v[9:10], v[9:10], v[7:8]
	s_waitcnt vmcnt(1)
	v_fma_f64 v[1:2], -v[65:66], v[15:16], v[1:2]
	s_waitcnt vmcnt(0)
	v_fma_f64 v[13:14], -v[65:66], v[17:18], v[13:14]
	v_add_f64 v[1:2], v[13:14], -v[1:2]
	v_add_f64 v[13:14], v[3:4], -v[7:8]
	v_add_f64 v[3:4], v[3:4], v[7:8]
	v_add_f64 v[9:10], v[9:10], -v[1:2]
	v_add_f64 v[7:8], v[13:14], -v[1:2]
	v_add_f64 v[1:2], v[1:2], v[3:4]
	v_ldexp_f64 v[59:60], v[9:10], -3
	v_ldexp_f64 v[13:14], v[7:8], -3
	;; [unrolled: 1-line block ×3, first 2 shown]
	v_mul_f64 v[1:2], v[13:14], v[51:52]
	v_fma_f64 v[63:64], v[59:60], v[75:76], -v[1:2]
	v_mul_f64 v[1:2], v[61:62], v[75:76]
	v_fma_f64 v[65:66], v[13:14], v[73:74], -v[1:2]
	;; [unrolled: 2-line block ×3, first 2 shown]
	v_add_f64 v[1:2], v[73:74], -v[65:66]
	v_add_f64 v[3:4], -v[73:74], -v[65:66]
	v_add_f64 v[1:2], v[1:2], -v[63:64]
	v_add_f64 v[3:4], v[3:4], -v[63:64]
	v_mul_f64 v[1:2], v[1:2], v[53:54]
	v_fma_f64 v[6:7], v[3:4], v[5:6], v[1:2]
	v_cndmask_b32_e64 v1, 0, 0x100, vcc_lo
	v_ldexp_f64 v[53:54], v[77:78], v1
	v_add_f64 v[77:78], v[15:16], -v[17:18]
	v_rsq_f64_e32 v[1:2], v[53:54]
	v_mul_f64 v[3:4], v[53:54], v[1:2]
	v_mul_f64 v[1:2], v[1:2], 0.5
	v_fma_f64 v[8:9], -v[1:2], v[3:4], 0.5
	v_fma_f64 v[3:4], v[3:4], v[8:9], v[3:4]
	v_fma_f64 v[1:2], v[1:2], v[8:9], v[1:2]
	v_fma_f64 v[8:9], -v[3:4], v[3:4], v[53:54]
	v_fma_f64 v[3:4], v[8:9], v[1:2], v[3:4]
	v_fma_f64 v[8:9], -v[3:4], v[3:4], v[53:54]
	v_fma_f64 v[75:76], v[8:9], v[1:2], v[3:4]
	s_clause 0x1
	buffer_load_dword v1, off, s[36:39], 0
	buffer_load_dword v2, off, s[36:39], 0 offset:4
	v_add_f64 v[4:5], v[11:12], -v[79:80]
	v_mul_f64 v[10:11], v[61:62], v[67:68]
	v_add_f64 v[8:9], v[47:48], -v[49:50]
	v_fma_f64 v[47:48], v[59:60], v[71:72], -v[10:11]
	v_mul_f64 v[10:11], v[13:14], v[71:72]
	v_fma_f64 v[49:50], v[61:62], v[69:70], -v[10:11]
	v_mul_f64 v[10:11], v[59:60], v[69:70]
	s_waitcnt vmcnt(0)
	v_add_f64 v[19:20], v[1:2], v[19:20]
	v_add_f64 v[2:3], v[55:56], -v[57:58]
	v_fma_f64 v[55:56], v[13:14], v[67:68], -v[10:11]
	v_mul_f64 v[10:11], v[67:68], v[65:66]
	v_ashrrev_i32_e32 v1, 31, v0
	v_add_f64 v[57:58], v[47:48], v[49:50]
	v_lshlrev_b64 v[0:1], 3, v[0:1]
	v_add_f64 v[15:16], v[21:22], v[19:20]
	v_add_f64 v[21:22], v[47:48], -v[49:50]
	v_fma_f64 v[17:18], v[59:60], v[45:46], v[10:11]
	v_cndmask_b32_e64 v10, 0, 0xffffff80, vcc_lo
	v_add_f64 v[57:58], v[57:58], -v[55:56]
	v_ldexp_f64 v[19:20], v[75:76], v10
	v_add_co_u32 v10, vcc_lo, s14, v0
	v_add_co_ci_u32_e64 v11, null, s15, v1, vcc_lo
	v_cmp_class_f64_e64 vcc_lo, v[53:54], 0x260
	global_load_dwordx2 v[10:11], v[10:11], off
	v_mul_f64 v[12:13], v[15:16], s[0:1]
	v_fma_f64 v[16:17], v[49:50], v[51:52], v[17:18]
	v_cndmask_b32_e32 v15, v20, v54, vcc_lo
	v_cndmask_b32_e32 v14, v19, v53, vcc_lo
	v_add_f64 v[18:19], -v[47:48], -v[49:50]
	v_add_f64 v[20:21], v[21:22], -v[55:56]
	v_add_f64 v[47:48], v[49:50], -v[47:48]
	v_ldexp_f64 v[16:17], v[16:17], 3
	v_add_f64 v[31:32], v[18:19], -v[55:56]
	v_mul_f64 v[39:40], v[20:21], v[39:40]
	v_mul_f64 v[18:19], v[12:13], 4.0
	v_add_f64 v[20:21], v[25:26], -v[27:28]
	v_add_f64 v[25:26], v[43:44], v[45:46]
	v_add_f64 v[27:28], v[45:46], -v[43:44]
	v_add_f64 v[43:44], v[73:74], v[65:66]
	v_add_f64 v[45:46], v[65:66], -v[73:74]
	v_div_scale_f64 v[53:54], null, v[16:17], v[16:17], 1.0
	v_fma_f64 v[35:36], v[31:32], v[29:30], v[39:40]
	v_div_scale_f64 v[49:50], null, v[14:15], v[14:15], v[18:19]
	v_add_f64 v[59:60], v[25:26], -v[37:38]
	v_add_f64 v[37:38], v[27:28], -v[37:38]
	;; [unrolled: 1-line block ×4, first 2 shown]
	v_rcp_f64_e32 v[31:32], v[53:54]
	v_fma_f64 v[6:7], v[39:40], v[8:9], v[6:7]
	v_fma_f64 v[8:9], v[57:58], v[33:34], v[35:36]
	;; [unrolled: 1-line block ×3, first 2 shown]
	s_waitcnt vmcnt(0)
	v_div_scale_f64 v[51:52], null, v[10:11], v[10:11], v[12:13]
	v_rcp_f64_e32 v[41:42], v[51:52]
	v_fma_f64 v[29:30], -v[51:52], v[41:42], 1.0
	v_fma_f64 v[27:28], v[41:42], v[29:30], v[41:42]
	v_fma_f64 v[41:42], -v[53:54], v[31:32], 1.0
	v_rcp_f64_e32 v[29:30], v[49:50]
	v_fma_f64 v[43:44], -v[51:52], v[27:28], 1.0
	v_fma_f64 v[31:32], v[31:32], v[41:42], v[31:32]
	v_fma_f64 v[41:42], -v[49:50], v[29:30], 1.0
	v_fma_f64 v[27:28], v[27:28], v[43:44], v[27:28]
	v_div_scale_f64 v[43:44], vcc_lo, v[12:13], v[10:11], v[12:13]
	v_fma_f64 v[45:46], -v[53:54], v[31:32], 1.0
	v_fma_f64 v[29:30], v[29:30], v[41:42], v[29:30]
	v_fma_f64 v[41:42], v[77:78], v[59:60], v[23:24]
	v_div_scale_f64 v[22:23], s0, 1.0, v[16:17], 1.0
	v_mul_f64 v[59:60], v[43:44], v[27:28]
	v_fma_f64 v[31:32], v[31:32], v[45:46], v[31:32]
	v_fma_f64 v[45:46], -v[49:50], v[29:30], 1.0
	v_fma_f64 v[4:5], v[37:38], v[4:5], v[41:42]
	v_fma_f64 v[43:44], -v[51:52], v[59:60], v[43:44]
	v_mul_f64 v[51:52], v[22:23], v[31:32]
	v_fma_f64 v[45:46], v[29:30], v[45:46], v[29:30]
	v_div_scale_f64 v[29:30], s1, v[18:19], v[14:15], v[18:19]
	v_div_fmas_f64 v[43:44], v[43:44], v[27:28], v[59:60]
	s_mov_b32 vcc_lo, s1
	v_fma_f64 v[53:54], -v[53:54], v[51:52], v[22:23]
	s_waitcnt lgkmcnt(0)
	v_add_co_u32 v22, s2, s4, v0
	v_add_co_ci_u32_e64 v23, null, s5, v1, s2
	v_mul_f64 v[61:62], v[29:30], v[45:46]
	global_load_dwordx2 v[22:23], v[22:23], off
	v_div_fixup_f64 v[10:11], v[43:44], v[10:11], v[12:13]
	v_fma_f64 v[49:50], -v[49:50], v[61:62], v[29:30]
	v_add_f64 v[29:30], v[47:48], -v[55:56]
	v_div_fmas_f64 v[27:28], v[49:50], v[45:46], v[61:62]
	s_mov_b32 vcc_lo, s0
	v_fma_f64 v[6:7], v[29:30], v[20:21], v[8:9]
	v_div_fmas_f64 v[31:32], v[53:54], v[31:32], v[51:52]
	v_add_co_u32 v8, vcc_lo, s28, v0
	v_add_co_ci_u32_e64 v9, null, s29, v1, vcc_lo
	v_div_fixup_f64 v[14:15], v[27:28], v[14:15], v[18:19]
	v_div_fixup_f64 v[12:13], v[31:32], v[16:17], 1.0
	v_add_co_u32 v16, vcc_lo, s6, v0
	v_add_co_ci_u32_e64 v17, null, s7, v1, vcc_lo
	v_mul_f64 v[4:5], v[12:13], v[4:5]
	v_mul_f64 v[2:3], v[12:13], v[2:3]
	;; [unrolled: 1-line block ×3, first 2 shown]
	v_add_co_u32 v12, vcc_lo, s8, v0
	v_add_co_ci_u32_e64 v13, null, s9, v1, vcc_lo
	v_add_co_u32 v18, vcc_lo, s10, v0
	v_add_co_ci_u32_e64 v19, null, s11, v1, vcc_lo
	s_waitcnt vmcnt(0)
	v_add_f64 v[20:21], v[10:11], -v[22:23]
	v_add_co_u32 v22, vcc_lo, s24, v0
	v_add_co_ci_u32_e64 v23, null, s25, v1, vcc_lo
	v_add_co_u32 v0, vcc_lo, s26, v0
	v_add_co_ci_u32_e64 v1, null, s27, v1, vcc_lo
	global_store_dwordx2 v[8:9], v[10:11], off
	global_store_dwordx2 v[16:17], v[20:21], off
	;; [unrolled: 1-line block ×6, first 2 shown]
.LBB10_2:
	s_endpgm
	.section	.rodata,"a",@progbits
	.p2align	6, 0x0
	.amdhsa_kernel _Z22calcKinematicsForElemsPKdS0_S0_S0_S0_S0_PKiS0_S0_PdS3_S3_S3_S3_S3_di
		.amdhsa_group_segment_fixed_size 0
		.amdhsa_private_segment_fixed_size 12
		.amdhsa_kernarg_size 392
		.amdhsa_user_sgpr_count 6
		.amdhsa_user_sgpr_private_segment_buffer 1
		.amdhsa_user_sgpr_dispatch_ptr 0
		.amdhsa_user_sgpr_queue_ptr 0
		.amdhsa_user_sgpr_kernarg_segment_ptr 1
		.amdhsa_user_sgpr_dispatch_id 0
		.amdhsa_user_sgpr_flat_scratch_init 0
		.amdhsa_user_sgpr_private_segment_size 0
		.amdhsa_wavefront_size32 1
		.amdhsa_uses_dynamic_stack 0
		.amdhsa_system_sgpr_private_segment_wavefront_offset 1
		.amdhsa_system_sgpr_workgroup_id_x 1
		.amdhsa_system_sgpr_workgroup_id_y 0
		.amdhsa_system_sgpr_workgroup_id_z 0
		.amdhsa_system_sgpr_workgroup_info 0
		.amdhsa_system_vgpr_workitem_id 0
		.amdhsa_next_free_vgpr 127
		.amdhsa_next_free_sgpr 40
		.amdhsa_reserve_vcc 1
		.amdhsa_reserve_flat_scratch 0
		.amdhsa_float_round_mode_32 0
		.amdhsa_float_round_mode_16_64 0
		.amdhsa_float_denorm_mode_32 3
		.amdhsa_float_denorm_mode_16_64 3
		.amdhsa_dx10_clamp 1
		.amdhsa_ieee_mode 1
		.amdhsa_fp16_overflow 0
		.amdhsa_workgroup_processor_mode 1
		.amdhsa_memory_ordered 1
		.amdhsa_forward_progress 1
		.amdhsa_shared_vgpr_count 0
		.amdhsa_exception_fp_ieee_invalid_op 0
		.amdhsa_exception_fp_denorm_src 0
		.amdhsa_exception_fp_ieee_div_zero 0
		.amdhsa_exception_fp_ieee_overflow 0
		.amdhsa_exception_fp_ieee_underflow 0
		.amdhsa_exception_fp_ieee_inexact 0
		.amdhsa_exception_int_div_zero 0
	.end_amdhsa_kernel
	.text
.Lfunc_end10:
	.size	_Z22calcKinematicsForElemsPKdS0_S0_S0_S0_S0_PKiS0_S0_PdS3_S3_S3_S3_S3_di, .Lfunc_end10-_Z22calcKinematicsForElemsPKdS0_S0_S0_S0_S0_PKiS0_S0_PdS3_S3_S3_S3_S3_di
                                        ; -- End function
	.set _Z22calcKinematicsForElemsPKdS0_S0_S0_S0_S0_PKiS0_S0_PdS3_S3_S3_S3_S3_di.num_vgpr, 127
	.set _Z22calcKinematicsForElemsPKdS0_S0_S0_S0_S0_PKiS0_S0_PdS3_S3_S3_S3_S3_di.num_agpr, 0
	.set _Z22calcKinematicsForElemsPKdS0_S0_S0_S0_S0_PKiS0_S0_PdS3_S3_S3_S3_S3_di.numbered_sgpr, 40
	.set _Z22calcKinematicsForElemsPKdS0_S0_S0_S0_S0_PKiS0_S0_PdS3_S3_S3_S3_S3_di.num_named_barrier, 0
	.set _Z22calcKinematicsForElemsPKdS0_S0_S0_S0_S0_PKiS0_S0_PdS3_S3_S3_S3_S3_di.private_seg_size, 12
	.set _Z22calcKinematicsForElemsPKdS0_S0_S0_S0_S0_PKiS0_S0_PdS3_S3_S3_S3_S3_di.uses_vcc, 1
	.set _Z22calcKinematicsForElemsPKdS0_S0_S0_S0_S0_PKiS0_S0_PdS3_S3_S3_S3_S3_di.uses_flat_scratch, 0
	.set _Z22calcKinematicsForElemsPKdS0_S0_S0_S0_S0_PKiS0_S0_PdS3_S3_S3_S3_S3_di.has_dyn_sized_stack, 0
	.set _Z22calcKinematicsForElemsPKdS0_S0_S0_S0_S0_PKiS0_S0_PdS3_S3_S3_S3_S3_di.has_recursion, 0
	.set _Z22calcKinematicsForElemsPKdS0_S0_S0_S0_S0_PKiS0_S0_PdS3_S3_S3_S3_S3_di.has_indirect_call, 0
	.section	.AMDGPU.csdata,"",@progbits
; Kernel info:
; codeLenInByte = 5260
; TotalNumSgprs: 42
; NumVgprs: 127
; ScratchSize: 12
; MemoryBound: 0
; FloatMode: 240
; IeeeMode: 1
; LDSByteSize: 0 bytes/workgroup (compile time only)
; SGPRBlocks: 0
; VGPRBlocks: 15
; NumSGPRsForWavesPerEU: 42
; NumVGPRsForWavesPerEU: 127
; Occupancy: 8
; WaveLimiterHint : 1
; COMPUTE_PGM_RSRC2:SCRATCH_EN: 1
; COMPUTE_PGM_RSRC2:USER_SGPR: 6
; COMPUTE_PGM_RSRC2:TRAP_HANDLER: 0
; COMPUTE_PGM_RSRC2:TGID_X_EN: 1
; COMPUTE_PGM_RSRC2:TGID_Y_EN: 0
; COMPUTE_PGM_RSRC2:TGID_Z_EN: 0
; COMPUTE_PGM_RSRC2:TIDIG_COMP_CNT: 0
	.text
	.protected	_Z15calcStrainRatesPdS_S_PKdS_Pii ; -- Begin function _Z15calcStrainRatesPdS_S_PKdS_Pii
	.globl	_Z15calcStrainRatesPdS_S_PKdS_Pii
	.p2align	8
	.type	_Z15calcStrainRatesPdS_S_PKdS_Pii,@function
_Z15calcStrainRatesPdS_S_PKdS_Pii:      ; @_Z15calcStrainRatesPdS_S_PKdS_Pii
; %bb.0:
	s_clause 0x1
	s_load_dword s0, s[4:5], 0x44
	s_load_dword s1, s[4:5], 0x30
	s_waitcnt lgkmcnt(0)
	s_and_b32 s0, s0, 0xffff
	v_mad_u64_u32 v[0:1], null, s6, s0, v[0:1]
	s_mov_b32 s0, exec_lo
	v_cmpx_gt_i32_e64 s1, v0
	s_cbranch_execz .LBB11_3
; %bb.1:
	s_load_dwordx8 s[8:15], s[4:5], 0x0
	v_ashrrev_i32_e32 v1, 31, v0
	s_load_dwordx2 s[0:1], s[4:5], 0x20
	v_lshlrev_b64 v[1:2], 3, v[0:1]
	s_waitcnt lgkmcnt(0)
	v_add_co_u32 v3, vcc_lo, s8, v1
	v_add_co_ci_u32_e64 v4, null, s9, v2, vcc_lo
	v_add_co_u32 v5, vcc_lo, s10, v1
	v_add_co_ci_u32_e64 v6, null, s11, v2, vcc_lo
	global_load_dwordx2 v[7:8], v[3:4], off
	global_load_dwordx2 v[9:10], v[5:6], off
	v_add_co_u32 v11, vcc_lo, s12, v1
	v_add_co_ci_u32_e64 v12, null, s13, v2, vcc_lo
	v_add_co_u32 v15, vcc_lo, s14, v1
	v_add_co_ci_u32_e64 v16, null, s15, v2, vcc_lo
	global_load_dwordx2 v[13:14], v[11:12], off
	v_add_co_u32 v1, s0, s0, v1
	global_load_dwordx2 v[15:16], v[15:16], off
	v_add_co_ci_u32_e64 v2, null, s1, v2, s0
	s_waitcnt vmcnt(2)
	v_add_f64 v[17:18], v[7:8], v[9:10]
	s_waitcnt vmcnt(1)
	v_add_f64 v[17:18], v[17:18], v[13:14]
	v_div_scale_f64 v[19:20], null, 0x40080000, 0x40080000, v[17:18]
	v_div_scale_f64 v[25:26], vcc_lo, v[17:18], 0x40080000, v[17:18]
	v_rcp_f64_e32 v[21:22], v[19:20]
	v_fma_f64 v[23:24], -v[19:20], v[21:22], 1.0
	v_fma_f64 v[21:22], v[21:22], v[23:24], v[21:22]
	v_fma_f64 v[23:24], -v[19:20], v[21:22], 1.0
	v_fma_f64 v[21:22], v[21:22], v[23:24], v[21:22]
	v_mul_f64 v[23:24], v[25:26], v[21:22]
	v_fma_f64 v[19:20], -v[19:20], v[23:24], v[25:26]
	v_div_fmas_f64 v[19:20], v[19:20], v[21:22], v[23:24]
	s_waitcnt vmcnt(0)
	v_cmp_ge_f64_e32 vcc_lo, 0, v[15:16]
	v_div_fixup_f64 v[19:20], v[19:20], 0x40080000, v[17:18]
	v_add_f64 v[7:8], v[7:8], -v[19:20]
	v_add_f64 v[9:10], v[9:10], -v[19:20]
	;; [unrolled: 1-line block ×3, first 2 shown]
	global_store_dwordx2 v[1:2], v[17:18], off
	global_store_dwordx2 v[3:4], v[7:8], off
	;; [unrolled: 1-line block ×4, first 2 shown]
	s_and_b32 exec_lo, exec_lo, vcc_lo
	s_cbranch_execz .LBB11_3
; %bb.2:
	s_load_dwordx2 s[0:1], s[4:5], 0x28
	v_mov_b32_e32 v1, 0
	s_waitcnt lgkmcnt(0)
	global_store_dword v1, v0, s[0:1]
.LBB11_3:
	s_endpgm
	.section	.rodata,"a",@progbits
	.p2align	6, 0x0
	.amdhsa_kernel _Z15calcStrainRatesPdS_S_PKdS_Pii
		.amdhsa_group_segment_fixed_size 0
		.amdhsa_private_segment_fixed_size 0
		.amdhsa_kernarg_size 312
		.amdhsa_user_sgpr_count 6
		.amdhsa_user_sgpr_private_segment_buffer 1
		.amdhsa_user_sgpr_dispatch_ptr 0
		.amdhsa_user_sgpr_queue_ptr 0
		.amdhsa_user_sgpr_kernarg_segment_ptr 1
		.amdhsa_user_sgpr_dispatch_id 0
		.amdhsa_user_sgpr_flat_scratch_init 0
		.amdhsa_user_sgpr_private_segment_size 0
		.amdhsa_wavefront_size32 1
		.amdhsa_uses_dynamic_stack 0
		.amdhsa_system_sgpr_private_segment_wavefront_offset 0
		.amdhsa_system_sgpr_workgroup_id_x 1
		.amdhsa_system_sgpr_workgroup_id_y 0
		.amdhsa_system_sgpr_workgroup_id_z 0
		.amdhsa_system_sgpr_workgroup_info 0
		.amdhsa_system_vgpr_workitem_id 0
		.amdhsa_next_free_vgpr 27
		.amdhsa_next_free_sgpr 16
		.amdhsa_reserve_vcc 1
		.amdhsa_reserve_flat_scratch 0
		.amdhsa_float_round_mode_32 0
		.amdhsa_float_round_mode_16_64 0
		.amdhsa_float_denorm_mode_32 3
		.amdhsa_float_denorm_mode_16_64 3
		.amdhsa_dx10_clamp 1
		.amdhsa_ieee_mode 1
		.amdhsa_fp16_overflow 0
		.amdhsa_workgroup_processor_mode 1
		.amdhsa_memory_ordered 1
		.amdhsa_forward_progress 1
		.amdhsa_shared_vgpr_count 0
		.amdhsa_exception_fp_ieee_invalid_op 0
		.amdhsa_exception_fp_denorm_src 0
		.amdhsa_exception_fp_ieee_div_zero 0
		.amdhsa_exception_fp_ieee_overflow 0
		.amdhsa_exception_fp_ieee_underflow 0
		.amdhsa_exception_fp_ieee_inexact 0
		.amdhsa_exception_int_div_zero 0
	.end_amdhsa_kernel
	.text
.Lfunc_end11:
	.size	_Z15calcStrainRatesPdS_S_PKdS_Pii, .Lfunc_end11-_Z15calcStrainRatesPdS_S_PKdS_Pii
                                        ; -- End function
	.set _Z15calcStrainRatesPdS_S_PKdS_Pii.num_vgpr, 27
	.set _Z15calcStrainRatesPdS_S_PKdS_Pii.num_agpr, 0
	.set _Z15calcStrainRatesPdS_S_PKdS_Pii.numbered_sgpr, 16
	.set _Z15calcStrainRatesPdS_S_PKdS_Pii.num_named_barrier, 0
	.set _Z15calcStrainRatesPdS_S_PKdS_Pii.private_seg_size, 0
	.set _Z15calcStrainRatesPdS_S_PKdS_Pii.uses_vcc, 1
	.set _Z15calcStrainRatesPdS_S_PKdS_Pii.uses_flat_scratch, 0
	.set _Z15calcStrainRatesPdS_S_PKdS_Pii.has_dyn_sized_stack, 0
	.set _Z15calcStrainRatesPdS_S_PKdS_Pii.has_recursion, 0
	.set _Z15calcStrainRatesPdS_S_PKdS_Pii.has_indirect_call, 0
	.section	.AMDGPU.csdata,"",@progbits
; Kernel info:
; codeLenInByte = 420
; TotalNumSgprs: 18
; NumVgprs: 27
; ScratchSize: 0
; MemoryBound: 0
; FloatMode: 240
; IeeeMode: 1
; LDSByteSize: 0 bytes/workgroup (compile time only)
; SGPRBlocks: 0
; VGPRBlocks: 3
; NumSGPRsForWavesPerEU: 18
; NumVGPRsForWavesPerEU: 27
; Occupancy: 16
; WaveLimiterHint : 0
; COMPUTE_PGM_RSRC2:SCRATCH_EN: 0
; COMPUTE_PGM_RSRC2:USER_SGPR: 6
; COMPUTE_PGM_RSRC2:TRAP_HANDLER: 0
; COMPUTE_PGM_RSRC2:TGID_X_EN: 1
; COMPUTE_PGM_RSRC2:TGID_Y_EN: 0
; COMPUTE_PGM_RSRC2:TGID_Z_EN: 0
; COMPUTE_PGM_RSRC2:TIDIG_COMP_CNT: 0
	.text
	.protected	_Z31calcMonotonicQGradientsForElemsPKdS0_S0_S0_S0_S0_PKiS0_PdS3_S3_S3_S3_S3_S0_i ; -- Begin function _Z31calcMonotonicQGradientsForElemsPKdS0_S0_S0_S0_S0_PKiS0_PdS3_S3_S3_S3_S3_S0_i
	.globl	_Z31calcMonotonicQGradientsForElemsPKdS0_S0_S0_S0_S0_PKiS0_PdS3_S3_S3_S3_S3_S0_i
	.p2align	8
	.type	_Z31calcMonotonicQGradientsForElemsPKdS0_S0_S0_S0_S0_PKiS0_PdS3_S3_S3_S3_S3_S0_i,@function
_Z31calcMonotonicQGradientsForElemsPKdS0_S0_S0_S0_S0_PKiS0_PdS3_S3_S3_S3_S3_S0_i: ; @_Z31calcMonotonicQGradientsForElemsPKdS0_S0_S0_S0_S0_PKiS0_PdS3_S3_S3_S3_S3_S0_i
; %bb.0:
	s_clause 0x1
	s_load_dword s0, s[4:5], 0x8c
	s_load_dword s1, s[4:5], 0x78
	s_waitcnt lgkmcnt(0)
	s_and_b32 s0, s0, 0xffff
	v_mad_u64_u32 v[66:67], null, s6, s0, v[0:1]
	s_mov_b32 s0, exec_lo
	v_cmpx_gt_i32_e64 s1, v66
	s_cbranch_execz .LBB12_2
; %bb.1:
	s_load_dwordx8 s[16:23], s[4:5], 0x20
	v_lshlrev_b32_e32 v0, 3, v66
	s_clause 0x1
	s_load_dwordx8 s[8:15], s[4:5], 0x0
	s_load_dwordx2 s[0:1], s[4:5], 0x70
	v_ashrrev_i32_e32 v67, 31, v66
	s_mov_b32 s6, 0x932d2e72
	v_ashrrev_i32_e32 v1, 31, v0
	s_mov_b32 s7, 0x38754484
	v_lshlrev_b64 v[0:1], 2, v[0:1]
	s_waitcnt lgkmcnt(0)
	v_add_co_u32 v4, vcc_lo, s20, v0
	v_add_co_ci_u32_e64 v5, null, s21, v1, vcc_lo
	s_clause 0x1
	global_load_dwordx4 v[0:3], v[4:5], off
	global_load_dwordx4 v[4:7], v[4:5], off offset:16
	s_waitcnt vmcnt(1)
	v_ashrrev_i32_e32 v9, 31, v1
	v_mov_b32_e32 v8, v1
	v_ashrrev_i32_e32 v11, 31, v2
	v_mov_b32_e32 v10, v2
	v_ashrrev_i32_e32 v2, 31, v3
	v_mov_b32_e32 v1, v3
	v_lshlrev_b64 v[16:17], 3, v[8:9]
	s_waitcnt vmcnt(0)
	v_ashrrev_i32_e32 v13, 31, v4
	v_mov_b32_e32 v12, v4
	v_ashrrev_i32_e32 v4, 31, v5
	v_mov_b32_e32 v3, v5
	v_lshlrev_b64 v[10:11], 3, v[10:11]
	v_ashrrev_i32_e32 v19, 31, v6
	v_mov_b32_e32 v18, v6
	v_ashrrev_i32_e32 v21, 31, v7
	v_mov_b32_e32 v20, v7
	v_lshlrev_b64 v[6:7], 3, v[1:2]
	v_ashrrev_i32_e32 v23, 31, v0
	v_mov_b32_e32 v22, v0
	v_lshlrev_b64 v[14:15], 3, v[12:13]
	v_lshlrev_b64 v[12:13], 3, v[3:4]
	v_add_co_u32 v0, vcc_lo, s14, v16
	v_lshlrev_b64 v[8:9], 3, v[18:19]
	v_add_co_ci_u32_e64 v1, null, s15, v17, vcc_lo
	v_add_co_u32 v18, vcc_lo, s14, v10
	v_add_co_ci_u32_e64 v19, null, s15, v11, vcc_lo
	v_add_co_u32 v26, vcc_lo, s14, v6
	;; [unrolled: 2-line block ×8, first 2 shown]
	v_lshlrev_b64 v[4:5], 3, v[20:21]
	v_add_co_ci_u32_e64 v37, null, s15, v9, vcc_lo
	v_add_co_u32 v20, vcc_lo, s18, v10
	v_lshlrev_b64 v[2:3], 3, v[22:23]
	v_add_co_ci_u32_e64 v21, null, s19, v11, vcc_lo
	v_add_co_u32 v40, vcc_lo, s18, v6
	v_add_co_ci_u32_e64 v41, null, s19, v7, vcc_lo
	v_add_co_u32 v42, vcc_lo, s18, v16
	;; [unrolled: 2-line block ×5, first 2 shown]
	v_add_co_ci_u32_e64 v51, null, s19, v3, vcc_lo
	s_clause 0x1
	global_load_dwordx2 v[48:49], v[0:1], off
	global_load_dwordx2 v[22:23], v[18:19], off
	s_clause 0x3
	global_load_dwordx2 v[24:25], v[20:21], off
	global_load_dwordx2 v[20:21], v[40:41], off
	;; [unrolled: 1-line block ×4, first 2 shown]
	s_clause 0x1
	global_load_dwordx2 v[18:19], v[26:27], off
	global_load_dwordx2 v[56:57], v[46:47], off
	v_add_co_u32 v0, vcc_lo, s18, v8
	v_add_co_ci_u32_e64 v1, null, s19, v9, vcc_lo
	v_add_co_u32 v40, vcc_lo, s16, v2
	v_add_co_ci_u32_e64 v41, null, s17, v3, vcc_lo
	;; [unrolled: 2-line block ×3, first 2 shown]
	s_clause 0x3
	global_load_dwordx2 v[28:29], v[28:29], off
	global_load_dwordx2 v[26:27], v[34:35], off
	;; [unrolled: 1-line block ×4, first 2 shown]
	s_clause 0x1
	global_load_dwordx2 v[42:43], v[44:45], off
	global_load_dwordx2 v[34:35], v[0:1], off
	s_clause 0x2
	global_load_dwordx2 v[32:33], v[36:37], off
	global_load_dwordx2 v[36:37], v[30:31], off
	;; [unrolled: 1-line block ×3, first 2 shown]
	v_add_co_u32 v0, vcc_lo, s16, v8
	v_add_co_ci_u32_e64 v1, null, s17, v9, vcc_lo
	v_add_co_u32 v44, vcc_lo, s18, v14
	v_add_co_ci_u32_e64 v45, null, s19, v15, vcc_lo
	;; [unrolled: 2-line block ×3, first 2 shown]
	s_clause 0x1
	global_load_dwordx2 v[46:47], v[38:39], off
	global_load_dwordx2 v[38:39], v[0:1], off
	v_add_co_u32 v0, vcc_lo, s14, v14
	v_add_co_ci_u32_e64 v1, null, s15, v15, vcc_lo
	s_clause 0x1
	global_load_dwordx2 v[40:41], v[40:41], off
	global_load_dwordx2 v[58:59], v[44:45], off
	;; [unrolled: 1-line block ×3, first 2 shown]
	v_add_co_u32 v0, vcc_lo, s16, v4
	v_add_co_ci_u32_e64 v1, null, s17, v5, vcc_lo
	v_add_co_u32 v60, vcc_lo, s16, v14
	v_add_co_ci_u32_e64 v61, null, s17, v15, vcc_lo
	s_clause 0x1
	global_load_dwordx2 v[44:45], v[0:1], off
	global_load_dwordx2 v[60:61], v[60:61], off
	v_lshlrev_b64 v[0:1], 3, v[66:67]
	s_load_dwordx4 s[16:19], s[4:5], 0x60
	v_add_co_u32 v66, vcc_lo, s22, v0
	v_add_co_ci_u32_e64 v67, null, s23, v1, vcc_lo
	v_add_co_u32 v68, vcc_lo, s0, v0
	v_add_co_ci_u32_e64 v69, null, s1, v1, vcc_lo
	global_load_dwordx2 v[66:67], v[66:67], off
	global_load_dwordx2 v[68:69], v[68:69], off
	s_waitcnt vmcnt(24)
	v_add_f64 v[70:71], v[48:49], v[22:23]
	s_waitcnt vmcnt(22)
	v_add_f64 v[74:75], v[24:25], v[20:21]
	;; [unrolled: 2-line block ×5, first 2 shown]
	v_add_f64 v[48:49], v[56:57], v[48:49]
	v_add_f64 v[52:53], v[52:53], v[24:25]
	;; [unrolled: 1-line block ×3, first 2 shown]
	s_waitcnt vmcnt(16)
	v_add_f64 v[80:81], v[28:29], v[26:27]
	s_waitcnt vmcnt(14)
	v_add_f64 v[56:57], v[62:63], v[64:65]
	v_add_f64 v[64:65], v[64:65], v[28:29]
	v_add_f64 v[62:63], v[62:63], v[26:27]
	s_waitcnt vmcnt(11)
	v_add_f64 v[70:71], v[70:71], v[32:33]
	v_add_f64 v[74:75], v[74:75], v[34:35]
	v_add_f64 v[82:83], v[72:73], v[42:43]
	v_add_f64 v[78:79], v[78:79], v[32:33]
	s_waitcnt vmcnt(9)
	v_add_f64 v[76:77], v[76:77], v[30:31]
	;; [unrolled: 5-line block ×3, first 2 shown]
	v_add_f64 v[86:87], v[56:57], v[46:47]
	s_waitcnt vmcnt(6)
	v_add_f64 v[50:51], v[50:51], v[40:41]
	v_add_f64 v[64:65], v[64:65], v[38:39]
	;; [unrolled: 1-line block ×4, first 2 shown]
	s_waitcnt vmcnt(4)
	v_add_f64 v[36:37], v[54:55], v[36:37]
	v_add_f64 v[74:75], v[74:75], v[40:41]
	;; [unrolled: 1-line block ×3, first 2 shown]
	s_waitcnt vmcnt(3)
	v_add_f64 v[62:63], v[62:63], v[44:45]
	v_add_f64 v[76:77], v[54:55], v[76:77]
	;; [unrolled: 1-line block ×8, first 2 shown]
	s_waitcnt vmcnt(2)
	v_add_f64 v[86:87], v[60:61], v[86:87]
	v_add_f64 v[50:51], v[58:59], v[50:51]
	;; [unrolled: 1-line block ×6, first 2 shown]
	v_add_f64 v[74:75], v[82:83], -v[74:75]
	v_add_f64 v[62:63], v[60:61], v[62:63]
	v_add_f64 v[70:71], v[70:71], -v[76:77]
	v_add_f64 v[76:77], v[84:85], -v[78:79]
	v_add_f64 v[34:35], v[42:43], v[34:35]
	v_add_f64 v[42:43], v[72:73], v[24:25]
	v_add_f64 v[78:79], v[86:87], -v[80:81]
	v_add_f64 v[50:51], v[52:53], -v[50:51]
	v_add_f64 v[36:37], v[46:47], v[38:39]
	v_add_f64 v[30:31], v[32:33], v[30:31]
	v_ldexp_f64 v[52:53], -v[74:75], -2
	v_add_f64 v[58:59], v[64:65], -v[62:63]
	v_ldexp_f64 v[70:71], v[70:71], -2
	v_ldexp_f64 v[62:63], -v[76:77], -2
	v_add_f64 v[34:35], v[34:35], v[40:41]
	v_add_f64 v[38:39], v[42:43], v[20:21]
	v_ldexp_f64 v[64:65], -v[78:79], -2
	v_ldexp_f64 v[50:51], v[50:51], -2
	v_add_f64 v[32:33], v[36:37], v[44:45]
	v_add_co_u32 v36, vcc_lo, s8, v16
	v_add_co_ci_u32_e64 v37, null, s9, v17, vcc_lo
	v_add_f64 v[22:23], v[30:31], -v[22:23]
	s_waitcnt vmcnt(0)
	v_fma_f64 v[30:31], v[66:67], v[68:69], s[6:7]
	v_mul_f64 v[66:67], v[66:67], v[68:69]
	v_ldexp_f64 v[54:55], v[58:59], -2
	v_mul_f64 v[74:75], v[70:71], v[52:53]
	v_add_f64 v[28:29], v[34:35], -v[38:39]
	v_add_co_u32 v38, vcc_lo, s10, v16
	v_add_co_ci_u32_e64 v39, null, s11, v17, vcc_lo
	v_mul_f64 v[58:59], v[64:65], v[50:51]
	v_add_f64 v[26:27], v[32:33], -v[26:27]
	v_add_co_u32 v16, vcc_lo, s12, v16
	v_add_co_ci_u32_e64 v17, null, s13, v17, vcc_lo
	v_ldexp_f64 v[22:23], v[22:23], -2
	v_mul_f64 v[40:41], v[62:63], v[54:55]
	v_fma_f64 v[24:25], v[62:63], v[50:51], -v[74:75]
	v_ldexp_f64 v[28:29], v[28:29], -2
	v_fma_f64 v[20:21], v[54:55], v[52:53], -v[58:59]
	v_ldexp_f64 v[26:27], v[26:27], -2
	v_mul_f64 v[60:61], v[22:23], v[64:65]
	v_mul_f64 v[80:81], v[22:23], v[50:51]
	v_fma_f64 v[18:19], v[70:71], v[64:65], -v[40:41]
	v_mul_f64 v[42:43], v[24:25], v[24:25]
	v_div_scale_f64 v[40:41], null, v[30:31], v[30:31], 1.0
	v_mul_f64 v[86:87], v[54:55], v[28:29]
	v_mul_f64 v[44:45], v[26:27], v[52:53]
	v_fma_f64 v[60:61], v[62:63], v[26:27], -v[60:61]
	v_fma_f64 v[34:35], v[20:21], v[20:21], v[42:43]
	v_rcp_f64_e32 v[58:59], v[40:41]
	v_add_co_u32 v42, vcc_lo, s8, v10
	v_add_co_ci_u32_e64 v43, null, s9, v11, vcc_lo
	v_add_co_u32 v46, vcc_lo, s10, v10
	v_add_co_ci_u32_e64 v47, null, s11, v11, vcc_lo
	v_add_co_u32 v48, vcc_lo, s8, v6
	v_fma_f64 v[44:45], v[64:65], v[28:29], -v[44:45]
	v_add_co_ci_u32_e64 v49, null, s9, v7, vcc_lo
	v_fma_f64 v[32:33], v[18:19], v[18:19], v[34:35]
	v_mul_f64 v[34:35], v[62:63], v[28:29]
	v_fma_f64 v[28:29], v[70:71], v[28:29], -v[80:81]
	v_fma_f64 v[78:79], -v[40:41], v[58:59], 1.0
	v_mul_f64 v[70:71], v[70:71], v[26:27]
	v_fma_f64 v[26:27], v[26:27], v[50:51], -v[86:87]
	v_add_f64 v[32:33], v[32:33], s[6:7]
	v_fma_f64 v[34:35], v[22:23], v[52:53], -v[34:35]
	v_mul_f64 v[50:51], v[28:29], v[28:29]
	v_fma_f64 v[58:59], v[58:59], v[78:79], v[58:59]
	v_add_co_u32 v52, vcc_lo, s10, v6
	v_add_co_ci_u32_e64 v53, null, s11, v7, vcc_lo
	v_add_co_u32 v56, vcc_lo, s8, v14
	v_add_co_ci_u32_e64 v57, null, s9, v15, vcc_lo
	v_fma_f64 v[22:23], v[22:23], v[54:55], -v[70:71]
	v_cmp_gt_f64_e64 s0, 0x10000000, v[32:33]
	v_mul_f64 v[64:65], v[34:35], v[34:35]
	v_fma_f64 v[50:51], v[26:27], v[26:27], v[50:51]
	v_cndmask_b32_e64 v72, 0, 0x100, s0
	v_fma_f64 v[62:63], v[44:45], v[44:45], v[64:65]
	v_fma_f64 v[50:51], v[22:23], v[22:23], v[50:51]
	v_ldexp_f64 v[32:33], v[32:33], v72
	v_add_co_u32 v72, vcc_lo, s10, v14
	v_add_co_ci_u32_e64 v73, null, s11, v15, vcc_lo
	v_add_co_u32 v14, vcc_lo, s12, v14
	v_add_co_ci_u32_e64 v15, null, s13, v15, vcc_lo
	;; [unrolled: 2-line block ×4, first 2 shown]
	v_add_co_u32 v12, vcc_lo, s12, v12
	v_fma_f64 v[62:63], v[60:61], v[60:61], v[62:63]
	v_add_co_ci_u32_e64 v13, null, s13, v13, vcc_lo
	v_rsq_f64_e32 v[64:65], v[32:33]
	v_add_co_u32 v82, vcc_lo, s8, v8
	v_add_co_ci_u32_e64 v83, null, s9, v9, vcc_lo
	v_add_co_u32 v84, vcc_lo, s10, v8
	v_add_co_ci_u32_e64 v85, null, s11, v9, vcc_lo
	;; [unrolled: 2-line block ×3, first 2 shown]
	s_clause 0x4
	global_load_dwordx2 v[56:57], v[56:57], off
	global_load_dwordx2 v[74:75], v[74:75], off
	global_load_dwordx2 v[36:37], v[36:37], off
	global_load_dwordx2 v[42:43], v[42:43], off
	global_load_dwordx2 v[48:49], v[48:49], off
	s_clause 0x4
	global_load_dwordx2 v[72:73], v[72:73], off
	global_load_dwordx2 v[76:77], v[76:77], off
	;; [unrolled: 1-line block ×6, first 2 shown]
	s_clause 0x1
	global_load_dwordx2 v[14:15], v[14:15], off
	global_load_dwordx2 v[12:13], v[12:13], off
	;; [unrolled: 1-line block ×3, first 2 shown]
	s_clause 0x1
	global_load_dwordx2 v[16:17], v[16:17], off
	global_load_dwordx2 v[10:11], v[10:11], off
	v_fma_f64 v[84:85], -v[40:41], v[58:59], 1.0
	v_add_co_u32 v8, vcc_lo, s12, v8
	v_add_f64 v[62:63], v[62:63], s[6:7]
	v_add_co_ci_u32_e64 v9, null, s13, v9, vcc_lo
	v_add_co_u32 v6, vcc_lo, s12, v6
	v_mul_f64 v[78:79], v[32:33], v[64:65]
	v_mul_f64 v[64:65], v[64:65], 0.5
	v_add_co_ci_u32_e64 v7, null, s13, v7, vcc_lo
	v_div_scale_f64 v[54:55], vcc_lo, 1.0, v[30:31], 1.0
	s_clause 0x1
	global_load_dwordx2 v[8:9], v[8:9], off
	global_load_dwordx2 v[6:7], v[6:7], off
	v_add_f64 v[50:51], v[50:51], s[6:7]
	v_fma_f64 v[58:59], v[58:59], v[84:85], v[58:59]
	v_cmp_gt_f64_e64 s1, 0x10000000, v[62:63]
	v_fma_f64 v[86:87], -v[64:65], v[78:79], 0.5
	v_mul_f64 v[84:85], v[54:55], v[58:59]
	v_cndmask_b32_e64 v88, 0, 0x100, s1
	v_ldexp_f64 v[62:63], v[62:63], v88
	v_fma_f64 v[70:71], v[78:79], v[86:87], v[78:79]
	v_add_co_u32 v78, s2, s8, v2
	v_add_co_ci_u32_e64 v79, null, s9, v3, s2
	v_add_co_u32 v90, s2, s10, v2
	v_fma_f64 v[64:65], v[64:65], v[86:87], v[64:65]
	global_load_dwordx2 v[78:79], v[78:79], off
	v_add_co_ci_u32_e64 v91, null, s11, v3, s2
	v_cmp_gt_f64_e64 s2, 0x10000000, v[50:51]
	v_fma_f64 v[40:41], -v[40:41], v[84:85], v[54:55]
	global_load_dwordx2 v[90:91], v[90:91], off
	v_rsq_f64_e32 v[88:89], v[62:63]
	v_fma_f64 v[86:87], -v[70:71], v[70:71], v[32:33]
	v_div_fmas_f64 v[40:41], v[40:41], v[58:59], v[84:85]
	v_add_co_u32 v84, vcc_lo, s10, v4
	v_add_co_ci_u32_e64 v85, null, s11, v5, vcc_lo
	v_add_co_u32 v2, vcc_lo, s12, v2
	v_add_co_ci_u32_e64 v3, null, s13, v3, vcc_lo
	v_fma_f64 v[54:55], v[86:87], v[64:65], v[70:71]
	v_mul_f64 v[70:71], v[62:63], v[88:89]
	v_mul_f64 v[86:87], v[88:89], 0.5
	v_cndmask_b32_e64 v88, 0, 0x100, s2
	global_load_dwordx2 v[84:85], v[84:85], off
	v_ldexp_f64 v[50:51], v[50:51], v88
	v_div_fixup_f64 v[30:31], v[40:41], v[30:31], 1.0
	v_fma_f64 v[58:59], -v[54:55], v[54:55], v[32:33]
	v_fma_f64 v[88:89], -v[86:87], v[70:71], 0.5
	v_mul_f64 v[24:25], v[24:25], v[30:31]
	v_mul_f64 v[34:35], v[34:35], v[30:31]
	;; [unrolled: 1-line block ×6, first 2 shown]
	v_fma_f64 v[54:55], v[58:59], v[64:65], v[54:55]
	v_rsq_f64_e32 v[58:59], v[50:51]
	v_fma_f64 v[64:65], v[70:71], v[88:89], v[70:71]
	v_fma_f64 v[86:87], v[86:87], v[88:89], v[86:87]
	v_fma_f64 v[88:89], -v[64:65], v[64:65], v[62:63]
	v_mul_f64 v[70:71], v[50:51], v[58:59]
	v_mul_f64 v[58:59], v[58:59], 0.5
	v_fma_f64 v[64:65], v[88:89], v[86:87], v[64:65]
	v_fma_f64 v[88:89], -v[58:59], v[70:71], 0.5
	v_fma_f64 v[70:71], v[70:71], v[88:89], v[70:71]
	v_fma_f64 v[58:59], v[58:59], v[88:89], v[58:59]
	v_fma_f64 v[88:89], -v[64:65], v[64:65], v[62:63]
	v_fma_f64 v[64:65], v[88:89], v[86:87], v[64:65]
	v_add_co_u32 v88, vcc_lo, s8, v4
	v_add_co_ci_u32_e64 v89, null, s9, v5, vcc_lo
	global_load_dwordx2 v[88:89], v[88:89], off
	global_load_dwordx2 v[2:3], v[2:3], off
	v_add_co_u32 v4, vcc_lo, s12, v4
	v_add_co_ci_u32_e64 v5, null, s13, v5, vcc_lo
	v_fma_f64 v[86:87], -v[70:71], v[70:71], v[50:51]
	v_cmp_class_f64_e64 vcc_lo, v[32:33], 0x260
	s_load_dwordx8 s[4:11], s[4:5], 0x40
	global_load_dwordx2 v[4:5], v[4:5], off
	v_fma_f64 v[70:71], v[86:87], v[58:59], v[70:71]
	v_cndmask_b32_e64 v86, 0, 0xffffff80, s0
	v_cndmask_b32_e64 v87, 0, 0xffffff80, s1
	v_cmp_class_f64_e64 s0, v[62:63], 0x260
	v_ldexp_f64 v[54:55], v[54:55], v86
	v_ldexp_f64 v[64:65], v[64:65], v87
	v_fma_f64 v[86:87], -v[70:71], v[70:71], v[50:51]
	v_cndmask_b32_e32 v33, v55, v33, vcc_lo
	v_cndmask_b32_e32 v32, v54, v32, vcc_lo
	v_cndmask_b32_e64 v63, v65, v63, s0
	v_cndmask_b32_e64 v62, v64, v62, s0
	v_cmp_class_f64_e64 vcc_lo, v[50:51], 0x260
	s_waitcnt vmcnt(22)
	v_add_f64 v[40:41], v[56:57], v[74:75]
	v_fma_f64 v[58:59], v[86:87], v[58:59], v[70:71]
	s_waitcnt vmcnt(20)
	v_add_f64 v[68:69], v[36:37], v[42:43]
	s_waitcnt vmcnt(19)
	v_add_f64 v[70:71], v[42:43], v[48:49]
	;; [unrolled: 2-line block ×6, first 2 shown]
	v_add_f64 v[40:41], v[40:41], v[80:81]
	v_add_f64 v[68:69], v[68:69], v[80:81]
	;; [unrolled: 1-line block ×13, first 2 shown]
	v_cndmask_b32_e64 v92, 0, 0xffffff80, s2
	v_ldexp_f64 v[58:59], v[58:59], v92
	s_waitcnt vmcnt(5)
	v_add_f64 v[36:37], v[78:79], v[36:37]
	v_add_f64 v[78:79], v[78:79], v[48:49]
	s_waitcnt vmcnt(4)
	v_add_f64 v[38:39], v[90:91], v[38:39]
	v_add_f64 v[90:91], v[90:91], v[52:53]
	v_cndmask_b32_e32 v51, v59, v51, vcc_lo
	v_cndmask_b32_e32 v50, v58, v50, vcc_lo
	v_add_f64 v[42:43], v[36:37], v[42:43]
	v_add_f64 v[36:37], v[36:37], v[74:75]
	v_add_f64 v[46:47], v[38:39], v[46:47]
	v_add_f64 v[38:39], v[38:39], v[76:77]
	s_waitcnt vmcnt(3)
	v_add_f64 v[90:91], v[90:91], v[84:85]
	v_add_f64 v[54:55], v[54:55], v[84:85]
	;; [unrolled: 1-line block ×4, first 2 shown]
	v_div_scale_f64 v[48:49], null, v[32:33], v[32:33], v[66:67]
	v_add_f64 v[36:37], v[56:57], v[36:37]
	v_add_f64 v[46:47], v[46:47], v[52:53]
	v_div_scale_f64 v[52:53], null, v[62:63], v[62:63], v[66:67]
	v_add_f64 v[38:39], v[72:73], v[38:39]
	v_add_f64 v[90:91], v[72:73], v[90:91]
	v_rcp_f64_e32 v[58:59], v[48:49]
	v_add_f64 v[46:47], v[54:55], -v[46:47]
	v_rcp_f64_e32 v[76:77], v[52:53]
	v_add_f64 v[38:39], v[38:39], -v[82:83]
	v_div_scale_f64 v[82:83], vcc_lo, v[66:67], v[32:33], v[66:67]
	v_add_f64 v[64:65], v[64:65], -v[90:91]
	v_fma_f64 v[72:73], -v[48:49], v[58:59], 1.0
	v_fma_f64 v[84:85], -v[52:53], v[76:77], 1.0
	v_ldexp_f64 v[38:39], -v[38:39], -2
	v_fma_f64 v[58:59], v[58:59], v[72:73], v[58:59]
	v_div_scale_f64 v[72:73], null, v[50:51], v[50:51], v[66:67]
	v_fma_f64 v[76:77], v[76:77], v[84:85], v[76:77]
	v_mul_f64 v[28:29], v[38:39], v[28:29]
	v_mul_f64 v[38:39], v[60:61], v[30:31]
	v_fma_f64 v[74:75], -v[48:49], v[58:59], 1.0
	v_rcp_f64_e32 v[84:85], v[72:73]
	v_fma_f64 v[58:59], v[58:59], v[74:75], v[58:59]
	v_div_scale_f64 v[74:75], s0, v[66:67], v[62:63], v[66:67]
	v_fma_f64 v[92:93], -v[72:73], v[84:85], 1.0
	s_waitcnt vmcnt(2)
	v_add_f64 v[78:79], v[78:79], v[88:89]
	v_fma_f64 v[84:85], v[84:85], v[92:93], v[84:85]
	s_waitcnt vmcnt(1)
	v_add_f64 v[16:17], v[2:3], v[16:17]
	v_add_f64 v[2:3], v[2:3], v[6:7]
	;; [unrolled: 1-line block ×5, first 2 shown]
	v_fma_f64 v[56:57], -v[52:53], v[76:77], 1.0
	v_fma_f64 v[54:55], -v[72:73], v[84:85], 1.0
	v_add_f64 v[10:11], v[16:17], v[10:11]
	s_waitcnt vmcnt(0)
	v_add_f64 v[2:3], v[2:3], v[4:5]
	v_add_f64 v[16:17], v[16:17], v[12:13]
	v_add_f64 v[36:37], v[36:37], -v[70:71]
	v_fma_f64 v[56:57], v[76:77], v[56:57], v[76:77]
	v_div_scale_f64 v[76:77], s1, v[66:67], v[50:51], v[66:67]
	v_fma_f64 v[54:55], v[84:85], v[54:55], v[84:85]
	v_add_f64 v[6:7], v[10:11], v[6:7]
	v_add_f64 v[10:11], v[12:13], v[86:87]
	;; [unrolled: 1-line block ×6, first 2 shown]
	v_add_f64 v[8:9], v[40:41], -v[42:43]
	v_add_f64 v[16:17], v[68:69], -v[78:79]
	v_ldexp_f64 v[40:41], v[46:47], -2
	v_mul_f64 v[46:47], v[82:83], v[58:59]
	v_ldexp_f64 v[42:43], v[64:65], -2
	v_ldexp_f64 v[36:37], -v[36:37], -2
	v_mul_f64 v[64:65], v[74:75], v[56:57]
	v_mul_f64 v[68:69], v[76:77], v[54:55]
	v_add_f64 v[2:3], v[10:11], -v[2:3]
	v_add_f64 v[6:7], v[12:13], -v[6:7]
	v_mul_f64 v[12:13], v[20:21], v[30:31]
	v_add_f64 v[4:5], v[14:15], -v[4:5]
	v_ldexp_f64 v[8:9], v[8:9], -2
	v_ldexp_f64 v[10:11], v[16:17], -2
	v_mul_f64 v[16:17], v[40:41], v[24:25]
	v_fma_f64 v[24:25], -v[48:49], v[46:47], v[82:83]
	v_mul_f64 v[14:15], v[44:45], v[30:31]
	v_mul_f64 v[20:21], v[42:43], v[34:35]
	v_fma_f64 v[34:35], -v[52:53], v[64:65], v[74:75]
	v_fma_f64 v[40:41], -v[72:73], v[68:69], v[76:77]
	v_ldexp_f64 v[2:3], v[2:3], -2
	v_ldexp_f64 v[6:7], v[6:7], -2
	v_ldexp_f64 v[4:5], -v[4:5], -2
	v_fma_f64 v[8:9], v[8:9], v[12:13], v[16:17]
	v_div_fmas_f64 v[12:13], v[24:25], v[58:59], v[46:47]
	s_mov_b32 vcc_lo, s0
	v_fma_f64 v[10:11], v[10:11], v[14:15], v[20:21]
	v_fma_f64 v[20:21], v[36:37], v[26:27], v[28:29]
	v_div_fmas_f64 v[14:15], v[34:35], v[56:57], v[64:65]
	s_mov_b32 vcc_lo, s1
	v_div_fmas_f64 v[16:17], v[40:41], v[54:55], v[68:69]
	s_waitcnt lgkmcnt(0)
	v_add_co_u32 v24, vcc_lo, s10, v0
	v_add_co_ci_u32_e64 v25, null, s11, v1, vcc_lo
	v_add_co_u32 v26, vcc_lo, s8, v0
	v_add_co_ci_u32_e64 v27, null, s9, v1, vcc_lo
	v_fma_f64 v[6:7], v[6:7], v[18:19], v[8:9]
	v_div_fixup_f64 v[8:9], v[12:13], v[32:33], v[66:67]
	v_fma_f64 v[2:3], v[2:3], v[38:39], v[10:11]
	v_fma_f64 v[4:5], v[4:5], v[22:23], v[20:21]
	v_div_fixup_f64 v[10:11], v[14:15], v[62:63], v[66:67]
	v_add_co_u32 v14, vcc_lo, s18, v0
	v_div_fixup_f64 v[12:13], v[16:17], v[50:51], v[66:67]
	v_add_co_ci_u32_e64 v15, null, s19, v1, vcc_lo
	v_add_co_u32 v16, vcc_lo, s16, v0
	v_add_co_ci_u32_e64 v17, null, s17, v1, vcc_lo
	v_add_co_u32 v18, vcc_lo, s6, v0
	;; [unrolled: 2-line block ×3, first 2 shown]
	v_add_co_ci_u32_e64 v1, null, s5, v1, vcc_lo
	global_store_dwordx2 v[26:27], v[6:7], off
	global_store_dwordx2 v[16:17], v[2:3], off
	;; [unrolled: 1-line block ×6, first 2 shown]
.LBB12_2:
	s_endpgm
	.section	.rodata,"a",@progbits
	.p2align	6, 0x0
	.amdhsa_kernel _Z31calcMonotonicQGradientsForElemsPKdS0_S0_S0_S0_S0_PKiS0_PdS3_S3_S3_S3_S3_S0_i
		.amdhsa_group_segment_fixed_size 0
		.amdhsa_private_segment_fixed_size 0
		.amdhsa_kernarg_size 384
		.amdhsa_user_sgpr_count 6
		.amdhsa_user_sgpr_private_segment_buffer 1
		.amdhsa_user_sgpr_dispatch_ptr 0
		.amdhsa_user_sgpr_queue_ptr 0
		.amdhsa_user_sgpr_kernarg_segment_ptr 1
		.amdhsa_user_sgpr_dispatch_id 0
		.amdhsa_user_sgpr_flat_scratch_init 0
		.amdhsa_user_sgpr_private_segment_size 0
		.amdhsa_wavefront_size32 1
		.amdhsa_uses_dynamic_stack 0
		.amdhsa_system_sgpr_private_segment_wavefront_offset 0
		.amdhsa_system_sgpr_workgroup_id_x 1
		.amdhsa_system_sgpr_workgroup_id_y 0
		.amdhsa_system_sgpr_workgroup_id_z 0
		.amdhsa_system_sgpr_workgroup_info 0
		.amdhsa_system_vgpr_workitem_id 0
		.amdhsa_next_free_vgpr 94
		.amdhsa_next_free_sgpr 24
		.amdhsa_reserve_vcc 1
		.amdhsa_reserve_flat_scratch 0
		.amdhsa_float_round_mode_32 0
		.amdhsa_float_round_mode_16_64 0
		.amdhsa_float_denorm_mode_32 3
		.amdhsa_float_denorm_mode_16_64 3
		.amdhsa_dx10_clamp 1
		.amdhsa_ieee_mode 1
		.amdhsa_fp16_overflow 0
		.amdhsa_workgroup_processor_mode 1
		.amdhsa_memory_ordered 1
		.amdhsa_forward_progress 1
		.amdhsa_shared_vgpr_count 0
		.amdhsa_exception_fp_ieee_invalid_op 0
		.amdhsa_exception_fp_denorm_src 0
		.amdhsa_exception_fp_ieee_div_zero 0
		.amdhsa_exception_fp_ieee_overflow 0
		.amdhsa_exception_fp_ieee_underflow 0
		.amdhsa_exception_fp_ieee_inexact 0
		.amdhsa_exception_int_div_zero 0
	.end_amdhsa_kernel
	.text
.Lfunc_end12:
	.size	_Z31calcMonotonicQGradientsForElemsPKdS0_S0_S0_S0_S0_PKiS0_PdS3_S3_S3_S3_S3_S0_i, .Lfunc_end12-_Z31calcMonotonicQGradientsForElemsPKdS0_S0_S0_S0_S0_PKiS0_PdS3_S3_S3_S3_S3_S0_i
                                        ; -- End function
	.set _Z31calcMonotonicQGradientsForElemsPKdS0_S0_S0_S0_S0_PKiS0_PdS3_S3_S3_S3_S3_S0_i.num_vgpr, 94
	.set _Z31calcMonotonicQGradientsForElemsPKdS0_S0_S0_S0_S0_PKiS0_PdS3_S3_S3_S3_S3_S0_i.num_agpr, 0
	.set _Z31calcMonotonicQGradientsForElemsPKdS0_S0_S0_S0_S0_PKiS0_PdS3_S3_S3_S3_S3_S0_i.numbered_sgpr, 24
	.set _Z31calcMonotonicQGradientsForElemsPKdS0_S0_S0_S0_S0_PKiS0_PdS3_S3_S3_S3_S3_S0_i.num_named_barrier, 0
	.set _Z31calcMonotonicQGradientsForElemsPKdS0_S0_S0_S0_S0_PKiS0_PdS3_S3_S3_S3_S3_S0_i.private_seg_size, 0
	.set _Z31calcMonotonicQGradientsForElemsPKdS0_S0_S0_S0_S0_PKiS0_PdS3_S3_S3_S3_S3_S0_i.uses_vcc, 1
	.set _Z31calcMonotonicQGradientsForElemsPKdS0_S0_S0_S0_S0_PKiS0_PdS3_S3_S3_S3_S3_S0_i.uses_flat_scratch, 0
	.set _Z31calcMonotonicQGradientsForElemsPKdS0_S0_S0_S0_S0_PKiS0_PdS3_S3_S3_S3_S3_S0_i.has_dyn_sized_stack, 0
	.set _Z31calcMonotonicQGradientsForElemsPKdS0_S0_S0_S0_S0_PKiS0_PdS3_S3_S3_S3_S3_S0_i.has_recursion, 0
	.set _Z31calcMonotonicQGradientsForElemsPKdS0_S0_S0_S0_S0_PKiS0_PdS3_S3_S3_S3_S3_S0_i.has_indirect_call, 0
	.section	.AMDGPU.csdata,"",@progbits
; Kernel info:
; codeLenInByte = 4140
; TotalNumSgprs: 26
; NumVgprs: 94
; ScratchSize: 0
; MemoryBound: 0
; FloatMode: 240
; IeeeMode: 1
; LDSByteSize: 0 bytes/workgroup (compile time only)
; SGPRBlocks: 0
; VGPRBlocks: 11
; NumSGPRsForWavesPerEU: 26
; NumVGPRsForWavesPerEU: 94
; Occupancy: 10
; WaveLimiterHint : 1
; COMPUTE_PGM_RSRC2:SCRATCH_EN: 0
; COMPUTE_PGM_RSRC2:USER_SGPR: 6
; COMPUTE_PGM_RSRC2:TRAP_HANDLER: 0
; COMPUTE_PGM_RSRC2:TGID_X_EN: 1
; COMPUTE_PGM_RSRC2:TGID_Y_EN: 0
; COMPUTE_PGM_RSRC2:TGID_Z_EN: 0
; COMPUTE_PGM_RSRC2:TIDIG_COMP_CNT: 0
	.text
	.protected	_Z22calcMonotonicQForElemsPKiPKdPdS3_S2_S2_S2_S2_S2_S2_S2_S2_S0_S0_S0_S0_S0_S0_S2_ddddi ; -- Begin function _Z22calcMonotonicQForElemsPKiPKdPdS3_S2_S2_S2_S2_S2_S2_S2_S2_S0_S0_S0_S0_S0_S0_S2_ddddi
	.globl	_Z22calcMonotonicQForElemsPKiPKdPdS3_S2_S2_S2_S2_S2_S2_S2_S2_S0_S0_S0_S0_S0_S0_S2_ddddi
	.p2align	8
	.type	_Z22calcMonotonicQForElemsPKiPKdPdS3_S2_S2_S2_S2_S2_S2_S2_S2_S0_S0_S0_S0_S0_S0_S2_ddddi,@function
_Z22calcMonotonicQForElemsPKiPKdPdS3_S2_S2_S2_S2_S2_S2_S2_S2_S0_S0_S0_S0_S0_S0_S2_ddddi: ; @_Z22calcMonotonicQForElemsPKiPKdPdS3_S2_S2_S2_S2_S2_S2_S2_S2_S0_S0_S0_S0_S0_S0_S2_ddddi
; %bb.0:
	s_clause 0x1
	s_load_dword s0, s[4:5], 0xcc
	s_load_dword s1, s[4:5], 0xb8
	s_waitcnt lgkmcnt(0)
	s_and_b32 s0, s0, 0xffff
	v_mad_u64_u32 v[0:1], null, s6, s0, v[0:1]
	s_mov_b32 s0, exec_lo
	v_cmpx_gt_i32_e64 s1, v0
	s_cbranch_execz .LBB13_64
; %bb.1:
	s_clause 0x5
	s_load_dwordx2 s[6:7], s[4:5], 0x90
	s_load_dwordx4 s[0:3], s[4:5], 0x80
	s_load_dwordx8 s[36:43], s[4:5], 0x60
	s_load_dwordx8 s[16:23], s[4:5], 0x40
	s_load_dwordx8 s[8:15], s[4:5], 0x0
	s_load_dwordx8 s[24:31], s[4:5], 0x20
	v_ashrrev_i32_e32 v1, 31, v0
	s_mov_b32 s33, 0
                                        ; implicit-def: $vgpr4_vgpr5
	v_lshlrev_b64 v[10:11], 2, v[0:1]
	v_lshlrev_b64 v[0:1], 3, v[0:1]
	s_waitcnt lgkmcnt(0)
	v_add_co_u32 v2, vcc_lo, s8, v10
	v_add_co_ci_u32_e64 v3, null, s9, v11, vcc_lo
	s_mov_b32 s9, -1
	s_mov_b32 s8, exec_lo
	global_load_dword v20, v[2:3], off
	v_add_co_u32 v2, vcc_lo, s20, v0
	v_add_co_ci_u32_e64 v3, null, s21, v1, vcc_lo
	global_load_dwordx2 v[2:3], v[2:3], off
	s_waitcnt vmcnt(1)
	v_and_b32_e32 v6, 7, v20
	v_cmpx_lt_i32_e32 0, v6
	s_cbranch_execz .LBB13_9
; %bb.2:
	s_mov_b32 s9, 0
	s_mov_b32 s34, exec_lo
	v_cmpx_lt_i32_e32 3, v6
	s_xor_b32 s34, exec_lo, s34
; %bb.3:
	v_cmp_ne_u32_e32 vcc_lo, 4, v6
	s_mov_b32 s9, exec_lo
                                        ; implicit-def: $vgpr6
	s_and_b32 s33, vcc_lo, exec_lo
; %bb.4:
	s_andn2_saveexec_b32 s34, s34
; %bb.5:
	v_cmp_ne_u32_e32 vcc_lo, 1, v6
	s_andn2_b32 s33, s33, exec_lo
	s_and_b32 s35, vcc_lo, exec_lo
	s_or_b32 s33, s33, s35
; %bb.6:
	s_or_b32 exec_lo, exec_lo, s34
	s_waitcnt vmcnt(0)
	v_mov_b32_e32 v5, v3
	v_mov_b32_e32 v4, v2
	s_and_saveexec_b32 s34, s33
	s_xor_b32 s33, exec_lo, s34
; %bb.7:
	v_mov_b32_e32 v4, 0
	v_mov_b32_e32 v5, 0
	s_andn2_b32 s9, s9, exec_lo
; %bb.8:
	s_or_b32 exec_lo, exec_lo, s33
	s_orn2_b32 s9, s9, exec_lo
.LBB13_9:
	s_or_b32 exec_lo, exec_lo, s8
	s_and_saveexec_b32 s8, s9
	s_cbranch_execz .LBB13_11
; %bb.10:
	v_add_co_u32 v4, vcc_lo, s36, v10
	v_add_co_ci_u32_e64 v5, null, s37, v11, vcc_lo
	global_load_dword v4, v[4:5], off
	s_waitcnt vmcnt(0)
	v_ashrrev_i32_e32 v5, 31, v4
	v_lshlrev_b64 v[4:5], 3, v[4:5]
	v_add_co_u32 v4, vcc_lo, s20, v4
	v_add_co_ci_u32_e64 v5, null, s21, v5, vcc_lo
	global_load_dwordx2 v[4:5], v[4:5], off
.LBB13_11:
	s_or_b32 exec_lo, exec_lo, s8
	v_bfe_u32 v8, v20, 3, 3
	s_mov_b32 s9, 0
	s_mov_b32 s33, -1
	s_mov_b32 s8, exec_lo
                                        ; implicit-def: $vgpr6_vgpr7
	v_cmpx_lt_i32_e32 0, v8
	s_cbranch_execz .LBB13_19
; %bb.12:
	s_mov_b32 s33, exec_lo
	v_cmpx_lt_i32_e32 3, v8
	s_xor_b32 s33, exec_lo, s33
; %bb.13:
	v_cmp_eq_u32_e32 vcc_lo, 4, v8
                                        ; implicit-def: $vgpr8
	s_and_b32 s9, vcc_lo, exec_lo
; %bb.14:
	s_or_saveexec_b32 s33, s33
	v_mov_b32_e32 v6, 0
	v_mov_b32_e32 v7, 0
	s_xor_b32 exec_lo, exec_lo, s33
	s_cbranch_execz .LBB13_18
; %bb.15:
	v_mov_b32_e32 v6, 0
	v_mov_b32_e32 v7, 0
	s_mov_b32 s34, exec_lo
	v_cmpx_eq_u32_e32 1, v8
	s_cbranch_execz .LBB13_17
; %bb.16:
	s_waitcnt vmcnt(0)
	v_mov_b32_e32 v7, v3
	v_mov_b32_e32 v6, v2
.LBB13_17:
	s_or_b32 exec_lo, exec_lo, s34
.LBB13_18:
	s_or_b32 exec_lo, exec_lo, s33
	s_orn2_b32 s33, s9, exec_lo
.LBB13_19:
	s_or_b32 exec_lo, exec_lo, s8
	s_and_saveexec_b32 s8, s33
	s_cbranch_execz .LBB13_21
; %bb.20:
	v_add_co_u32 v6, vcc_lo, s38, v10
	v_add_co_ci_u32_e64 v7, null, s39, v11, vcc_lo
	global_load_dword v6, v[6:7], off
	s_waitcnt vmcnt(0)
	v_ashrrev_i32_e32 v7, 31, v6
	v_lshlrev_b64 v[6:7], 3, v[6:7]
	v_add_co_u32 v6, vcc_lo, s20, v6
	v_add_co_ci_u32_e64 v7, null, s21, v7, vcc_lo
	global_load_dwordx2 v[6:7], v[6:7], off
.LBB13_21:
	s_or_b32 exec_lo, exec_lo, s8
	v_add_co_u32 v8, vcc_lo, s28, v0
	v_add_co_ci_u32_e64 v9, null, s29, v1, vcc_lo
	v_bfe_u32 v14, v20, 6, 3
	s_mov_b32 s20, 0
	s_mov_b32 s9, -1
	global_load_dwordx2 v[8:9], v[8:9], off
	s_mov_b32 s8, exec_lo
                                        ; implicit-def: $vgpr12_vgpr13
	v_cmpx_lt_i32_e32 0, v14
	s_cbranch_execz .LBB13_29
; %bb.22:
	s_mov_b32 s9, 0
	s_mov_b32 s21, exec_lo
	v_cmpx_lt_i32_e32 3, v14
	s_xor_b32 s21, exec_lo, s21
; %bb.23:
	v_cmp_ne_u32_e32 vcc_lo, 4, v14
	s_mov_b32 s9, exec_lo
                                        ; implicit-def: $vgpr14
	s_and_b32 s20, vcc_lo, exec_lo
; %bb.24:
	s_andn2_saveexec_b32 s21, s21
; %bb.25:
	v_cmp_ne_u32_e32 vcc_lo, 1, v14
	s_andn2_b32 s20, s20, exec_lo
	s_and_b32 s33, vcc_lo, exec_lo
	s_or_b32 s20, s20, s33
; %bb.26:
	s_or_b32 exec_lo, exec_lo, s21
	s_waitcnt vmcnt(0)
	v_mov_b32_e32 v13, v9
	v_mov_b32_e32 v12, v8
	s_and_saveexec_b32 s21, s20
	s_xor_b32 s20, exec_lo, s21
; %bb.27:
	v_mov_b32_e32 v12, 0
	v_mov_b32_e32 v13, 0
	s_andn2_b32 s9, s9, exec_lo
; %bb.28:
	s_or_b32 exec_lo, exec_lo, s20
	s_orn2_b32 s9, s9, exec_lo
.LBB13_29:
	s_or_b32 exec_lo, exec_lo, s8
	s_and_saveexec_b32 s8, s9
	s_cbranch_execz .LBB13_31
; %bb.30:
	v_add_co_u32 v12, vcc_lo, s2, v10
	v_add_co_ci_u32_e64 v13, null, s3, v11, vcc_lo
	global_load_dword v12, v[12:13], off
	s_waitcnt vmcnt(0)
	v_ashrrev_i32_e32 v13, 31, v12
	v_lshlrev_b64 v[12:13], 3, v[12:13]
	v_add_co_u32 v12, vcc_lo, s28, v12
	v_add_co_ci_u32_e64 v13, null, s29, v13, vcc_lo
	global_load_dwordx2 v[12:13], v[12:13], off
.LBB13_31:
	s_or_b32 exec_lo, exec_lo, s8
	v_bfe_u32 v14, v20, 9, 3
	s_mov_b32 s3, 0
	s_mov_b32 s8, -1
	s_mov_b32 s2, exec_lo
                                        ; implicit-def: $vgpr16_vgpr17
	v_cmpx_lt_i32_e32 0, v14
	s_cbranch_execz .LBB13_39
; %bb.32:
	s_mov_b32 s8, exec_lo
	v_cmpx_lt_i32_e32 3, v14
	s_xor_b32 s8, exec_lo, s8
; %bb.33:
	v_cmp_eq_u32_e32 vcc_lo, 4, v14
                                        ; implicit-def: $vgpr14
	s_and_b32 s3, vcc_lo, exec_lo
; %bb.34:
	s_or_saveexec_b32 s8, s8
	v_mov_b32_e32 v16, 0
	v_mov_b32_e32 v17, 0
	s_xor_b32 exec_lo, exec_lo, s8
	s_cbranch_execz .LBB13_38
; %bb.35:
	v_mov_b32_e32 v16, 0
	v_mov_b32_e32 v17, 0
	s_mov_b32 s9, exec_lo
	v_cmpx_eq_u32_e32 1, v14
	s_cbranch_execz .LBB13_37
; %bb.36:
	s_waitcnt vmcnt(0)
	v_mov_b32_e32 v17, v9
	v_mov_b32_e32 v16, v8
.LBB13_37:
	s_or_b32 exec_lo, exec_lo, s9
.LBB13_38:
	s_or_b32 exec_lo, exec_lo, s8
	s_orn2_b32 s8, s3, exec_lo
.LBB13_39:
	s_or_b32 exec_lo, exec_lo, s2
	s_and_saveexec_b32 s2, s8
	s_cbranch_execz .LBB13_41
; %bb.40:
	v_add_co_u32 v14, vcc_lo, s0, v10
	v_add_co_ci_u32_e64 v15, null, s1, v11, vcc_lo
	global_load_dword v14, v[14:15], off
	s_waitcnt vmcnt(0)
	v_ashrrev_i32_e32 v15, 31, v14
	v_lshlrev_b64 v[14:15], 3, v[14:15]
	v_add_co_u32 v14, vcc_lo, s28, v14
	v_add_co_ci_u32_e64 v15, null, s29, v15, vcc_lo
	global_load_dwordx2 v[16:17], v[14:15], off
.LBB13_41:
	s_or_b32 exec_lo, exec_lo, s2
	v_add_co_u32 v14, vcc_lo, s16, v0
	v_add_co_ci_u32_e64 v15, null, s17, v1, vcc_lo
	v_bfe_u32 v21, v20, 12, 3
	s_mov_b32 s2, 0
	s_mov_b32 s1, -1
	global_load_dwordx2 v[14:15], v[14:15], off
	s_mov_b32 s0, exec_lo
                                        ; implicit-def: $vgpr18_vgpr19
	v_cmpx_lt_i32_e32 0, v21
	s_cbranch_execz .LBB13_49
; %bb.42:
	s_mov_b32 s1, 0
	s_mov_b32 s3, exec_lo
	v_cmpx_lt_i32_e32 3, v21
	s_xor_b32 s3, exec_lo, s3
; %bb.43:
	v_cmp_ne_u32_e32 vcc_lo, 4, v21
	s_mov_b32 s1, exec_lo
                                        ; implicit-def: $vgpr21
	s_and_b32 s2, vcc_lo, exec_lo
; %bb.44:
	s_andn2_saveexec_b32 s3, s3
; %bb.45:
	v_cmp_ne_u32_e32 vcc_lo, 1, v21
	s_andn2_b32 s2, s2, exec_lo
	s_and_b32 s8, vcc_lo, exec_lo
	s_or_b32 s2, s2, s8
; %bb.46:
	s_or_b32 exec_lo, exec_lo, s3
	s_waitcnt vmcnt(0)
	v_mov_b32_e32 v19, v15
	v_mov_b32_e32 v18, v14
	s_and_saveexec_b32 s3, s2
	s_xor_b32 s2, exec_lo, s3
; %bb.47:
	v_mov_b32_e32 v18, 0
	v_mov_b32_e32 v19, 0
	s_andn2_b32 s1, s1, exec_lo
; %bb.48:
	s_or_b32 exec_lo, exec_lo, s2
	s_orn2_b32 s1, s1, exec_lo
.LBB13_49:
	s_or_b32 exec_lo, exec_lo, s0
	s_and_saveexec_b32 s0, s1
	s_cbranch_execz .LBB13_51
; %bb.50:
	v_add_co_u32 v18, vcc_lo, s40, v10
	v_add_co_ci_u32_e64 v19, null, s41, v11, vcc_lo
	global_load_dword v18, v[18:19], off
	s_waitcnt vmcnt(0)
	v_ashrrev_i32_e32 v19, 31, v18
	v_lshlrev_b64 v[18:19], 3, v[18:19]
	v_add_co_u32 v18, vcc_lo, s16, v18
	v_add_co_ci_u32_e64 v19, null, s17, v19, vcc_lo
	global_load_dwordx2 v[18:19], v[18:19], off
.LBB13_51:
	s_or_b32 exec_lo, exec_lo, s0
	v_bfe_u32 v22, v20, 15, 3
	s_mov_b32 s1, 0
	s_mov_b32 s2, -1
	s_mov_b32 s0, exec_lo
                                        ; implicit-def: $vgpr20_vgpr21
	v_cmpx_lt_i32_e32 0, v22
	s_cbranch_execz .LBB13_59
; %bb.52:
	s_mov_b32 s2, exec_lo
	v_cmpx_lt_i32_e32 3, v22
	s_xor_b32 s2, exec_lo, s2
; %bb.53:
	v_cmp_eq_u32_e32 vcc_lo, 4, v22
                                        ; implicit-def: $vgpr22
	s_and_b32 s1, vcc_lo, exec_lo
; %bb.54:
	s_or_saveexec_b32 s2, s2
	v_mov_b32_e32 v20, 0
	v_mov_b32_e32 v21, 0
	s_xor_b32 exec_lo, exec_lo, s2
	s_cbranch_execz .LBB13_58
; %bb.55:
	v_mov_b32_e32 v20, 0
	v_mov_b32_e32 v21, 0
	s_mov_b32 s3, exec_lo
	v_cmpx_eq_u32_e32 1, v22
	s_cbranch_execz .LBB13_57
; %bb.56:
	s_waitcnt vmcnt(0)
	v_mov_b32_e32 v21, v15
	v_mov_b32_e32 v20, v14
.LBB13_57:
	s_or_b32 exec_lo, exec_lo, s3
.LBB13_58:
	s_or_b32 exec_lo, exec_lo, s2
	s_orn2_b32 s2, s1, exec_lo
.LBB13_59:
	s_or_b32 exec_lo, exec_lo, s0
	s_and_saveexec_b32 s0, s2
	s_cbranch_execz .LBB13_61
; %bb.60:
	v_add_co_u32 v10, vcc_lo, s42, v10
	v_add_co_ci_u32_e64 v11, null, s43, v11, vcc_lo
	global_load_dword v10, v[10:11], off
	s_waitcnt vmcnt(0)
	v_ashrrev_i32_e32 v11, 31, v10
	v_lshlrev_b64 v[10:11], 3, v[10:11]
	v_add_co_u32 v10, vcc_lo, s16, v10
	v_add_co_ci_u32_e64 v11, null, s17, v11, vcc_lo
	global_load_dwordx2 v[20:21], v[10:11], off
.LBB13_61:
	s_or_b32 exec_lo, exec_lo, s0
	v_add_co_u32 v10, vcc_lo, s24, v0
	v_add_co_ci_u32_e64 v11, null, s25, v1, vcc_lo
	v_mov_b32_e32 v22, 0
	v_mov_b32_e32 v23, 0
	global_load_dwordx2 v[10:11], v[10:11], off
	s_waitcnt vmcnt(0)
	v_cmp_nlt_f64_e32 vcc_lo, 0, v[10:11]
	v_mov_b32_e32 v10, 0
	v_mov_b32_e32 v11, 0
	s_and_saveexec_b32 s16, vcc_lo
	s_cbranch_execz .LBB13_63
; %bb.62:
	v_add_co_u32 v10, vcc_lo, s26, v0
	v_add_co_ci_u32_e64 v11, null, s27, v1, vcc_lo
	v_add_co_u32 v22, vcc_lo, s6, v0
	v_add_co_ci_u32_e64 v23, null, s7, v1, vcc_lo
	global_load_dwordx2 v[10:11], v[10:11], off
	global_load_dwordx2 v[22:23], v[22:23], off
	v_add_co_u32 v24, vcc_lo, s10, v0
	v_add_co_ci_u32_e64 v25, null, s11, v1, vcc_lo
	s_mov_b32 s0, 0x932d2e72
	s_mov_b32 s1, 0x38754484
	v_add_co_u32 v36, vcc_lo, s30, v0
	global_load_dwordx2 v[24:25], v[24:25], off
	v_add_f64 v[26:27], v[8:9], s[0:1]
	v_add_f64 v[28:29], v[14:15], s[0:1]
	;; [unrolled: 1-line block ×3, first 2 shown]
	v_add_co_ci_u32_e64 v37, null, s31, v1, vcc_lo
	v_add_co_u32 v42, vcc_lo, s22, v0
	v_add_co_ci_u32_e64 v43, null, s23, v1, vcc_lo
	global_load_dwordx2 v[36:37], v[36:37], off
	v_add_co_u32 v50, vcc_lo, s18, v0
	global_load_dwordx2 v[42:43], v[42:43], off
	v_add_co_ci_u32_e64 v51, null, s19, v1, vcc_lo
	s_load_dwordx8 s[4:11], s[4:5], 0x98
	global_load_dwordx2 v[50:51], v[50:51], off
	v_div_scale_f64 v[30:31], null, v[26:27], v[26:27], 1.0
	v_div_scale_f64 v[34:35], null, v[28:29], v[28:29], 1.0
	;; [unrolled: 1-line block ×3, first 2 shown]
	v_div_scale_f64 v[54:55], vcc_lo, 1.0, v[26:27], 1.0
	v_div_scale_f64 v[56:57], s0, 1.0, v[28:29], 1.0
	v_rcp_f64_e32 v[38:39], v[30:31]
	v_rcp_f64_e32 v[44:45], v[34:35]
	;; [unrolled: 1-line block ×3, first 2 shown]
	v_fma_f64 v[48:49], -v[30:31], v[38:39], 1.0
	v_fma_f64 v[52:53], -v[34:35], v[44:45], 1.0
	v_fma_f64 v[38:39], v[38:39], v[48:49], v[38:39]
	v_fma_f64 v[48:49], -v[40:41], v[46:47], 1.0
	v_fma_f64 v[44:45], v[44:45], v[52:53], v[44:45]
	;; [unrolled: 2-line block ×5, first 2 shown]
	v_div_scale_f64 v[48:49], s1, 1.0, v[32:33], 1.0
	v_mul_f64 v[58:59], v[54:55], v[38:39]
	v_fma_f64 v[46:47], v[46:47], v[52:53], v[46:47]
	v_mul_f64 v[52:53], v[56:57], v[44:45]
	v_fma_f64 v[30:31], -v[30:31], v[58:59], v[54:55]
	v_mul_f64 v[54:55], v[48:49], v[46:47]
	v_fma_f64 v[34:35], -v[34:35], v[52:53], v[56:57]
	v_div_fmas_f64 v[30:31], v[30:31], v[38:39], v[58:59]
	v_fma_f64 v[40:41], -v[40:41], v[54:55], v[48:49]
	s_mov_b32 vcc_lo, s0
	v_div_fmas_f64 v[34:35], v[34:35], v[44:45], v[52:53]
	s_mov_b32 vcc_lo, s1
	v_div_fixup_f64 v[26:27], v[30:31], v[26:27], 1.0
	v_div_fmas_f64 v[38:39], v[40:41], v[46:47], v[54:55]
	v_mul_f64 v[16:17], v[26:27], v[16:17]
	v_div_fixup_f64 v[30:31], v[38:39], v[32:33], 1.0
	v_mul_f64 v[6:7], v[30:31], v[6:7]
	s_waitcnt vmcnt(4)
	v_mul_f64 v[10:11], v[10:11], v[22:23]
	v_div_fixup_f64 v[22:23], v[34:35], v[28:29], 1.0
	v_mul_f64 v[28:29], v[26:27], v[12:13]
	v_fma_f64 v[12:13], v[26:27], v[12:13], v[16:17]
	v_mul_f64 v[26:27], v[30:31], v[4:5]
	v_fma_f64 v[4:5], v[30:31], v[4:5], v[6:7]
	s_waitcnt lgkmcnt(0)
	v_mul_f64 v[16:17], s[4:5], v[16:17]
	v_mul_f64 v[6:7], s[4:5], v[6:7]
	s_waitcnt vmcnt(2)
	v_mul_f64 v[8:9], v[8:9], v[36:37]
	v_div_scale_f64 v[32:33], null, v[10:11], v[10:11], v[24:25]
	v_mul_f64 v[20:21], v[22:23], v[20:21]
	v_mul_f64 v[28:29], s[4:5], v[28:29]
	v_mul_f64 v[12:13], v[12:13], 0.5
	v_mul_f64 v[34:35], v[22:23], v[18:19]
	v_mul_f64 v[4:5], v[4:5], 0.5
	s_waitcnt vmcnt(1)
	v_mul_f64 v[2:3], v[2:3], v[42:43]
	s_waitcnt vmcnt(0)
	v_mul_f64 v[14:15], v[14:15], v[50:51]
	v_rcp_f64_e32 v[30:31], v[32:33]
	v_fma_f64 v[18:19], v[22:23], v[18:19], v[20:21]
	v_mul_f64 v[22:23], s[4:5], v[26:27]
	v_cmp_lt_f64_e32 vcc_lo, v[28:29], v[12:13]
	v_mul_f64 v[34:35], s[4:5], v[34:35]
	v_mul_f64 v[20:21], s[4:5], v[20:21]
	v_mul_f64 v[18:19], v[18:19], 0.5
	v_fma_f64 v[26:27], -v[32:33], v[30:31], 1.0
	v_cmp_lt_f64_e64 s0, v[22:23], v[4:5]
	v_cndmask_b32_e32 v13, v13, v29, vcc_lo
	v_cndmask_b32_e32 v12, v12, v28, vcc_lo
	v_cmp_lt_f64_e32 vcc_lo, v[16:17], v[12:13]
	v_cmp_lt_f64_e64 s1, v[34:35], v[18:19]
	v_fma_f64 v[26:27], v[30:31], v[26:27], v[30:31]
	v_cndmask_b32_e64 v5, v5, v23, s0
	v_cndmask_b32_e64 v4, v4, v22, s0
	v_cmp_lt_f64_e64 s0, v[6:7], v[4:5]
	v_cndmask_b32_e32 v13, v13, v17, vcc_lo
	v_cndmask_b32_e32 v12, v12, v16, vcc_lo
	v_cmp_ngt_f64_e32 vcc_lo, 0, v[12:13]
	v_cndmask_b32_e64 v17, v19, v35, s1
	v_fma_f64 v[22:23], -v[32:33], v[26:27], 1.0
	v_cndmask_b32_e64 v16, v18, v34, s1
	v_div_scale_f64 v[18:19], s1, v[24:25], v[10:11], v[24:25]
	v_cndmask_b32_e64 v5, v5, v7, s0
	v_cndmask_b32_e64 v4, v4, v6, s0
	v_cmp_lt_f64_e64 s0, v[20:21], v[16:17]
	v_cmp_ngt_f64_e64 s2, 0, v[4:5]
	v_cndmask_b32_e32 v7, 0, v13, vcc_lo
	v_cndmask_b32_e32 v6, 0, v12, vcc_lo
	v_cmp_nlt_f64_e32 vcc_lo, 0, v[8:9]
	v_cmp_lt_f64_e64 s3, s[6:7], v[6:7]
	v_fma_f64 v[22:23], v[26:27], v[22:23], v[26:27]
	v_cndmask_b32_e64 v17, v17, v21, s0
	v_cndmask_b32_e64 v16, v16, v20, s0
	v_cmp_nlt_f64_e64 s0, 0, v[2:3]
	v_cndmask_b32_e64 v5, 0, v5, s2
	v_cndmask_b32_e64 v4, 0, v4, s2
	v_cmp_ngt_f64_e64 s2, 0, v[16:17]
	v_cndmask_b32_e32 v9, 0, v9, vcc_lo
	v_cndmask_b32_e32 v8, 0, v8, vcc_lo
	v_cmp_lt_f64_e32 vcc_lo, s[6:7], v[4:5]
	v_cndmask_b32_e64 v7, v7, s7, s3
	v_cndmask_b32_e64 v6, v6, s6, s3
	v_mul_f64 v[12:13], v[18:19], v[22:23]
	v_mul_f64 v[20:21], v[8:9], v[8:9]
	v_cmp_nlt_f64_e64 s3, 0, v[14:15]
	v_add_f64 v[26:27], -v[6:7], 1.0
	v_fma_f64 v[6:7], -v[6:7], v[6:7], 1.0
	v_cndmask_b32_e64 v3, 0, v3, s0
	v_cndmask_b32_e64 v2, 0, v2, s0
	;; [unrolled: 1-line block ×4, first 2 shown]
	v_mul_f64 v[28:29], v[2:3], v[2:3]
	v_cndmask_b32_e64 v5, v5, s7, vcc_lo
	v_cndmask_b32_e64 v4, v4, s6, vcc_lo
	v_cmp_lt_f64_e64 s0, s[6:7], v[16:17]
	v_fma_f64 v[18:19], -v[32:33], v[12:13], v[18:19]
	s_mov_b32 vcc_lo, s1
	v_cndmask_b32_e64 v15, 0, v15, s3
	v_add_f64 v[30:31], -v[4:5], 1.0
	v_fma_f64 v[4:5], -v[4:5], v[4:5], 1.0
	v_mul_f64 v[8:9], v[26:27], v[8:9]
	v_mul_f64 v[6:7], v[6:7], v[20:21]
	v_cndmask_b32_e64 v14, 0, v14, s3
	v_cndmask_b32_e64 v17, v17, s7, s0
	v_div_fmas_f64 v[12:13], v[18:19], v[22:23], v[12:13]
	v_cndmask_b32_e64 v16, v16, s6, s0
	v_mul_f64 v[18:19], v[14:15], v[14:15]
	v_fma_f64 v[2:3], v[30:31], v[2:3], v[8:9]
	v_add_f64 v[20:21], -v[16:17], 1.0
	v_fma_f64 v[16:17], -v[16:17], v[16:17], 1.0
	v_fma_f64 v[4:5], v[4:5], v[28:29], v[6:7]
	v_div_fixup_f64 v[6:7], v[12:13], v[10:11], v[24:25]
	v_fma_f64 v[2:3], v[20:21], v[14:15], v[2:3]
	v_fma_f64 v[4:5], v[16:17], v[18:19], v[4:5]
	v_mul_f64 v[8:9], v[6:7], -s[8:9]
	v_mul_f64 v[6:7], s[10:11], v[6:7]
	v_mul_f64 v[10:11], v[2:3], v[8:9]
	v_mul_f64 v[22:23], v[6:7], v[4:5]
.LBB13_63:
	s_or_b32 exec_lo, exec_lo, s16
	v_add_co_u32 v2, vcc_lo, s14, v0
	v_add_co_ci_u32_e64 v3, null, s15, v1, vcc_lo
	v_add_co_u32 v0, vcc_lo, s12, v0
	v_add_co_ci_u32_e64 v1, null, s13, v1, vcc_lo
	global_store_dwordx2 v[2:3], v[22:23], off
	global_store_dwordx2 v[0:1], v[10:11], off
.LBB13_64:
	s_endpgm
	.section	.rodata,"a",@progbits
	.p2align	6, 0x0
	.amdhsa_kernel _Z22calcMonotonicQForElemsPKiPKdPdS3_S2_S2_S2_S2_S2_S2_S2_S2_S0_S0_S0_S0_S0_S0_S2_ddddi
		.amdhsa_group_segment_fixed_size 0
		.amdhsa_private_segment_fixed_size 0
		.amdhsa_kernarg_size 448
		.amdhsa_user_sgpr_count 6
		.amdhsa_user_sgpr_private_segment_buffer 1
		.amdhsa_user_sgpr_dispatch_ptr 0
		.amdhsa_user_sgpr_queue_ptr 0
		.amdhsa_user_sgpr_kernarg_segment_ptr 1
		.amdhsa_user_sgpr_dispatch_id 0
		.amdhsa_user_sgpr_flat_scratch_init 0
		.amdhsa_user_sgpr_private_segment_size 0
		.amdhsa_wavefront_size32 1
		.amdhsa_uses_dynamic_stack 0
		.amdhsa_system_sgpr_private_segment_wavefront_offset 0
		.amdhsa_system_sgpr_workgroup_id_x 1
		.amdhsa_system_sgpr_workgroup_id_y 0
		.amdhsa_system_sgpr_workgroup_id_z 0
		.amdhsa_system_sgpr_workgroup_info 0
		.amdhsa_system_vgpr_workitem_id 0
		.amdhsa_next_free_vgpr 60
		.amdhsa_next_free_sgpr 44
		.amdhsa_reserve_vcc 1
		.amdhsa_reserve_flat_scratch 0
		.amdhsa_float_round_mode_32 0
		.amdhsa_float_round_mode_16_64 0
		.amdhsa_float_denorm_mode_32 3
		.amdhsa_float_denorm_mode_16_64 3
		.amdhsa_dx10_clamp 1
		.amdhsa_ieee_mode 1
		.amdhsa_fp16_overflow 0
		.amdhsa_workgroup_processor_mode 1
		.amdhsa_memory_ordered 1
		.amdhsa_forward_progress 1
		.amdhsa_shared_vgpr_count 0
		.amdhsa_exception_fp_ieee_invalid_op 0
		.amdhsa_exception_fp_denorm_src 0
		.amdhsa_exception_fp_ieee_div_zero 0
		.amdhsa_exception_fp_ieee_overflow 0
		.amdhsa_exception_fp_ieee_underflow 0
		.amdhsa_exception_fp_ieee_inexact 0
		.amdhsa_exception_int_div_zero 0
	.end_amdhsa_kernel
	.text
.Lfunc_end13:
	.size	_Z22calcMonotonicQForElemsPKiPKdPdS3_S2_S2_S2_S2_S2_S2_S2_S2_S0_S0_S0_S0_S0_S0_S2_ddddi, .Lfunc_end13-_Z22calcMonotonicQForElemsPKiPKdPdS3_S2_S2_S2_S2_S2_S2_S2_S2_S0_S0_S0_S0_S0_S0_S2_ddddi
                                        ; -- End function
	.set _Z22calcMonotonicQForElemsPKiPKdPdS3_S2_S2_S2_S2_S2_S2_S2_S2_S0_S0_S0_S0_S0_S0_S2_ddddi.num_vgpr, 60
	.set _Z22calcMonotonicQForElemsPKiPKdPdS3_S2_S2_S2_S2_S2_S2_S2_S2_S0_S0_S0_S0_S0_S0_S2_ddddi.num_agpr, 0
	.set _Z22calcMonotonicQForElemsPKiPKdPdS3_S2_S2_S2_S2_S2_S2_S2_S2_S0_S0_S0_S0_S0_S0_S2_ddddi.numbered_sgpr, 44
	.set _Z22calcMonotonicQForElemsPKiPKdPdS3_S2_S2_S2_S2_S2_S2_S2_S2_S0_S0_S0_S0_S0_S0_S2_ddddi.num_named_barrier, 0
	.set _Z22calcMonotonicQForElemsPKiPKdPdS3_S2_S2_S2_S2_S2_S2_S2_S2_S0_S0_S0_S0_S0_S0_S2_ddddi.private_seg_size, 0
	.set _Z22calcMonotonicQForElemsPKiPKdPdS3_S2_S2_S2_S2_S2_S2_S2_S2_S0_S0_S0_S0_S0_S0_S2_ddddi.uses_vcc, 1
	.set _Z22calcMonotonicQForElemsPKiPKdPdS3_S2_S2_S2_S2_S2_S2_S2_S2_S0_S0_S0_S0_S0_S0_S2_ddddi.uses_flat_scratch, 0
	.set _Z22calcMonotonicQForElemsPKiPKdPdS3_S2_S2_S2_S2_S2_S2_S2_S2_S0_S0_S0_S0_S0_S0_S2_ddddi.has_dyn_sized_stack, 0
	.set _Z22calcMonotonicQForElemsPKiPKdPdS3_S2_S2_S2_S2_S2_S2_S2_S2_S0_S0_S0_S0_S0_S0_S2_ddddi.has_recursion, 0
	.set _Z22calcMonotonicQForElemsPKiPKdPdS3_S2_S2_S2_S2_S2_S2_S2_S2_S0_S0_S0_S0_S0_S0_S2_ddddi.has_indirect_call, 0
	.section	.AMDGPU.csdata,"",@progbits
; Kernel info:
; codeLenInByte = 2712
; TotalNumSgprs: 46
; NumVgprs: 60
; ScratchSize: 0
; MemoryBound: 0
; FloatMode: 240
; IeeeMode: 1
; LDSByteSize: 0 bytes/workgroup (compile time only)
; SGPRBlocks: 0
; VGPRBlocks: 7
; NumSGPRsForWavesPerEU: 46
; NumVGPRsForWavesPerEU: 60
; Occupancy: 16
; WaveLimiterHint : 1
; COMPUTE_PGM_RSRC2:SCRATCH_EN: 0
; COMPUTE_PGM_RSRC2:USER_SGPR: 6
; COMPUTE_PGM_RSRC2:TRAP_HANDLER: 0
; COMPUTE_PGM_RSRC2:TGID_X_EN: 1
; COMPUTE_PGM_RSRC2:TGID_Y_EN: 0
; COMPUTE_PGM_RSRC2:TGID_Z_EN: 0
; COMPUTE_PGM_RSRC2:TIDIG_COMP_CNT: 0
	.text
	.protected	_Z31applyMaterialPropertiesForElemsPKdS0_S0_PKiS2_PdS3_S3_S3_S3_S3_ddddddddddi ; -- Begin function _Z31applyMaterialPropertiesForElemsPKdS0_S0_PKiS2_PdS3_S3_S3_S3_S3_ddddddddddi
	.globl	_Z31applyMaterialPropertiesForElemsPKdS0_S0_PKiS2_PdS3_S3_S3_S3_S3_ddddddddddi
	.p2align	8
	.type	_Z31applyMaterialPropertiesForElemsPKdS0_S0_PKiS2_PdS3_S3_S3_S3_S3_ddddddddddi,@function
_Z31applyMaterialPropertiesForElemsPKdS0_S0_PKiS2_PdS3_S3_S3_S3_S3_ddddddddddi: ; @_Z31applyMaterialPropertiesForElemsPKdS0_S0_PKiS2_PdS3_S3_S3_S3_S3_ddddddddddi
; %bb.0:
	s_clause 0x1
	s_load_dword s0, s[4:5], 0xbc
	s_load_dword s1, s[4:5], 0xa8
	s_waitcnt lgkmcnt(0)
	s_and_b32 s0, s0, 0xffff
	v_mad_u64_u32 v[0:1], null, s6, s0, v[0:1]
	s_mov_b32 s0, exec_lo
	v_cmpx_gt_i32_e64 s1, v0
	s_cbranch_execz .LBB14_16
; %bb.1:
	s_load_dwordx2 s[0:1], s[4:5], 0x18
	v_ashrrev_i32_e32 v1, 31, v0
	s_load_dwordx8 s[8:15], s[4:5], 0x70
	v_lshlrev_b64 v[2:3], 2, v[0:1]
	v_lshlrev_b64 v[0:1], 3, v[0:1]
	s_waitcnt lgkmcnt(0)
	v_add_co_u32 v2, vcc_lo, s0, v2
	v_add_co_ci_u32_e64 v3, null, s1, v3, vcc_lo
	v_cmp_neq_f64_e64 s0, s[14:15], 0
	global_load_dword v24, v[2:3], off
	s_clause 0x1
	s_load_dwordx2 s[6:7], s[4:5], 0x50
	s_load_dwordx8 s[16:23], s[4:5], 0x90
	s_and_b32 vcc_lo, exec_lo, s0
	s_cbranch_vccnz .LBB14_3
; %bb.2:
	s_waitcnt lgkmcnt(0)
	v_add_co_u32 v2, vcc_lo, s6, v0
	v_add_co_ci_u32_e64 v3, null, s7, v1, vcc_lo
	global_load_dwordx2 v[2:3], v[2:3], off
	s_clause 0x1
	s_load_dwordx4 s[0:3], s[4:5], 0x28
	s_load_dwordx2 s[22:23], s[4:5], 0x38
	s_cbranch_execz .LBB14_4
	s_branch .LBB14_7
.LBB14_3:
                                        ; implicit-def: $vgpr2_vgpr3
	s_load_dwordx4 s[0:3], s[4:5], 0x28
	s_waitcnt lgkmcnt(0)
	s_load_dwordx2 s[22:23], s[4:5], 0x38
.LBB14_4:
	v_add_co_u32 v4, vcc_lo, s6, v0
	v_add_co_ci_u32_e64 v5, null, s7, v1, vcc_lo
	s_mov_b32 s24, exec_lo
	global_load_dwordx2 v[2:3], v[4:5], off
	s_waitcnt vmcnt(0)
	v_cmpx_gt_f64_e32 s[14:15], v[2:3]
	s_cbranch_execz .LBB14_6
; %bb.5:
	v_mov_b32_e32 v2, s14
	v_mov_b32_e32 v3, s15
	global_store_dwordx2 v[4:5], v[2:3], off
.LBB14_6:
	s_or_b32 exec_lo, exec_lo, s24
.LBB14_7:
	v_cmp_neq_f64_e64 s24, s[12:13], 0
	s_waitcnt vmcnt(0)
	v_cmp_lt_f64_e32 vcc_lo, s[12:13], v[2:3]
	s_and_b32 s25, s24, vcc_lo
	s_and_saveexec_b32 s24, s25
	s_cbranch_execz .LBB14_9
; %bb.8:
	v_add_co_u32 v4, vcc_lo, s6, v0
	v_mov_b32_e32 v2, s12
	v_add_co_ci_u32_e64 v5, null, s7, v1, vcc_lo
	v_mov_b32_e32 v3, s13
	global_store_dwordx2 v[4:5], v[2:3], off
.LBB14_9:
	s_or_b32 exec_lo, exec_lo, s24
	v_mul_f64 v[10:11], v[2:3], v[2:3]
	s_waitcnt lgkmcnt(0)
	v_add_co_u32 v4, vcc_lo, s22, v0
	v_add_co_ci_u32_e64 v5, null, s23, v1, vcc_lo
	v_add_co_u32 v6, vcc_lo, s2, v0
	v_add_co_ci_u32_e64 v7, null, s3, v1, vcc_lo
	;; [unrolled: 2-line block ×3, first 2 shown]
	s_mov_b32 s0, exec_lo
	v_cmpx_gt_i32_e32 1, v24
	s_xor_b32 s0, exec_lo, s0
; %bb.10:
	v_mul_f64 v[10:11], v[2:3], v[2:3]
                                        ; implicit-def: $vgpr24
; %bb.11:
	s_or_saveexec_b32 s22, s0
	s_load_dwordx4 s[24:27], s[4:5], 0x40
                                        ; implicit-def: $vgpr22_vgpr23
                                        ; implicit-def: $vgpr12_vgpr13
                                        ; implicit-def: $vgpr20_vgpr21
                                        ; implicit-def: $vgpr18_vgpr19
	s_xor_b32 exec_lo, exec_lo, s22
	s_cbranch_execz .LBB14_15
; %bb.12:
	s_clause 0x1
	s_load_dwordx2 s[6:7], s[4:5], 0x10
	s_load_dwordx4 s[0:3], s[4:5], 0x0
	s_waitcnt lgkmcnt(0)
	v_add_co_u32 v12, vcc_lo, s6, v0
	v_add_co_ci_u32_e64 v13, null, s7, v1, vcc_lo
	v_add_co_u32 v14, vcc_lo, s2, v0
	v_add_co_ci_u32_e64 v15, null, s3, v1, vcc_lo
	;; [unrolled: 2-line block ×3, first 2 shown]
	global_load_dwordx2 v[18:19], v[8:9], off
	global_load_dwordx2 v[22:23], v[6:7], off
	;; [unrolled: 1-line block ×6, first 2 shown]
	s_mov_b32 s0, 0
.LBB14_13:                              ; =>This Inner Loop Header: Depth=1
	v_add_nc_u32_e32 v24, -1, v24
	v_cmp_eq_u32_e32 vcc_lo, 0, v24
	s_or_b32 s0, vcc_lo, s0
	s_andn2_b32 exec_lo, exec_lo, s0
	s_cbranch_execnz .LBB14_13
; %bb.14:
	s_or_b32 exec_lo, exec_lo, s0
	s_waitcnt vmcnt(3)
	v_fma_f64 v[24:25], v[12:13], -0.5, v[2:3]
	v_div_scale_f64 v[26:27], null, v[2:3], v[2:3], 1.0
	v_div_scale_f64 v[38:39], vcc_lo, 1.0, v[2:3], 1.0
	s_mov_b32 s2, 0x55555555
	s_mov_b32 s3, 0x3fe55555
	s_load_dwordx4 s[4:7], s[4:5], 0x58
	v_div_scale_f64 v[28:29], null, v[24:25], v[24:25], 1.0
	v_rcp_f64_e32 v[30:31], v[26:27]
	v_rcp_f64_e32 v[32:33], v[28:29]
	v_fma_f64 v[34:35], -v[26:27], v[30:31], 1.0
	v_fma_f64 v[36:37], -v[28:29], v[32:33], 1.0
	v_fma_f64 v[30:31], v[30:31], v[34:35], v[30:31]
	v_fma_f64 v[32:33], v[32:33], v[36:37], v[32:33]
	v_fma_f64 v[34:35], -v[26:27], v[30:31], 1.0
	v_fma_f64 v[36:37], -v[28:29], v[32:33], 1.0
	v_fma_f64 v[30:31], v[30:31], v[34:35], v[30:31]
	v_div_scale_f64 v[34:35], s0, 1.0, v[24:25], 1.0
	v_fma_f64 v[32:33], v[32:33], v[36:37], v[32:33]
	v_mul_f64 v[36:37], v[38:39], v[30:31]
	v_mul_f64 v[40:41], v[34:35], v[32:33]
	v_fma_f64 v[26:27], -v[26:27], v[36:37], v[38:39]
	v_fma_f64 v[28:29], -v[28:29], v[40:41], v[34:35]
	v_div_fmas_f64 v[26:27], v[26:27], v[30:31], v[36:37]
	s_mov_b32 vcc_lo, s0
	v_cmp_le_f64_e64 s0, s[12:13], v[2:3]
	s_mov_b32 s12, 0x2a37d1a0
	s_mov_b32 s13, 0x3842e792
	v_div_fmas_f64 v[28:29], v[28:29], v[32:33], v[40:41]
	v_cmp_nge_f64_e32 vcc_lo, s[14:15], v[2:3]
	v_div_fixup_f64 v[26:27], v[26:27], v[2:3], 1.0
	s_mov_b32 s15, 0xbfc55555
	v_cndmask_b32_e64 v23, v23, 0, s0
	v_cndmask_b32_e64 v22, v22, 0, s0
	v_add_f64 v[22:23], v[22:23], v[18:19]
	v_div_fixup_f64 v[24:25], v[28:29], v[24:25], 1.0
	v_add_f64 v[26:27], v[26:27], -1.0
	v_add_f64 v[24:25], v[24:25], -1.0
	v_cndmask_b32_e32 v25, v27, v25, vcc_lo
	v_cndmask_b32_e32 v24, v26, v24, vcc_lo
	v_add_f64 v[26:27], v[26:27], 1.0
	v_add_f64 v[24:25], v[24:25], 1.0
	v_cndmask_b32_e64 v25, v25, 0x3ff00000, s0
	v_cndmask_b32_e64 v24, v24, 0, s0
	v_div_scale_f64 v[28:29], null, v[24:25], v[24:25], 1.0
	v_div_scale_f64 v[34:35], vcc_lo, 1.0, v[24:25], 1.0
	v_rcp_f64_e32 v[30:31], v[28:29]
	v_fma_f64 v[32:33], -v[28:29], v[30:31], 1.0
	v_fma_f64 v[30:31], v[30:31], v[32:33], v[30:31]
	v_fma_f64 v[32:33], -v[28:29], v[30:31], 1.0
	v_fma_f64 v[30:31], v[30:31], v[32:33], v[30:31]
	v_mul_f64 v[32:33], v[12:13], 0.5
	v_mul_f64 v[18:19], v[34:35], v[30:31]
	s_waitcnt vmcnt(0)
	v_fma_f64 v[20:21], -v[32:33], v[22:23], v[20:21]
	v_fma_f64 v[28:29], -v[28:29], v[18:19], v[34:35]
	v_add_f64 v[34:35], v[20:21], 0
	v_cmp_gt_f64_e64 s1, s[18:19], v[20:21]
	v_mul_f64 v[20:21], v[24:25], s[2:3]
	v_div_fmas_f64 v[18:19], v[28:29], v[30:31], v[18:19]
	v_cndmask_b32_e64 v29, v35, s19, s1
	v_cndmask_b32_e64 v28, v34, s18, s1
	v_mul_f64 v[30:31], v[28:29], v[20:21]
	v_div_fixup_f64 v[18:19], v[18:19], v[24:25], 1.0
	s_waitcnt lgkmcnt(0)
	v_cmp_lt_f64_e64 s1, |v[30:31]|, s[6:7]
	v_mul_f64 v[18:19], v[18:19], v[18:19]
	s_or_b32 s1, s0, s1
	v_cndmask_b32_e64 v25, v31, 0, s1
	v_cndmask_b32_e64 v24, v30, 0, s1
	v_cmp_lt_f64_e64 s1, 0, v[12:13]
	v_cmp_gt_f64_e32 vcc_lo, s[16:17], v[24:25]
	v_mul_f64 v[18:19], v[20:21], v[18:19]
	v_cndmask_b32_e64 v21, v25, s17, vcc_lo
	v_cndmask_b32_e64 v20, v24, s16, vcc_lo
	v_mul_f64 v[18:19], v[18:19], v[20:21]
	v_fma_f64 v[18:19], v[28:29], s[2:3], v[18:19]
	v_div_scale_f64 v[24:25], null, s[20:21], s[20:21], v[18:19]
	v_div_scale_f64 v[36:37], vcc_lo, v[18:19], s[20:21], v[18:19]
	v_rcp_f64_e32 v[30:31], v[24:25]
	v_fma_f64 v[34:35], -v[24:25], v[30:31], 1.0
	v_fma_f64 v[30:31], v[30:31], v[34:35], v[30:31]
	v_fma_f64 v[34:35], -v[24:25], v[30:31], 1.0
	v_fma_f64 v[30:31], v[30:31], v[34:35], v[30:31]
	v_mul_f64 v[34:35], v[36:37], v[30:31]
	v_fma_f64 v[24:25], -v[24:25], v[34:35], v[36:37]
	v_div_fmas_f64 v[24:25], v[24:25], v[30:31], v[34:35]
	v_div_fixup_f64 v[18:19], v[24:25], s[20:21], v[18:19]
	v_cmp_gt_f64_e32 vcc_lo, 0x10000000, v[18:19]
	v_cndmask_b32_e64 v24, 0, 0x100, vcc_lo
	v_ldexp_f64 v[24:25], v[18:19], v24
	v_rsq_f64_e32 v[30:31], v[24:25]
	v_mul_f64 v[34:35], v[24:25], v[30:31]
	v_mul_f64 v[30:31], v[30:31], 0.5
	v_fma_f64 v[36:37], -v[30:31], v[34:35], 0.5
	v_fma_f64 v[34:35], v[34:35], v[36:37], v[34:35]
	v_fma_f64 v[30:31], v[30:31], v[36:37], v[30:31]
	v_fma_f64 v[36:37], -v[34:35], v[34:35], v[24:25]
	v_fma_f64 v[34:35], v[36:37], v[30:31], v[34:35]
	v_fma_f64 v[36:37], -v[34:35], v[34:35], v[24:25]
	v_fma_f64 v[30:31], v[36:37], v[30:31], v[34:35]
	v_cndmask_b32_e64 v34, 0, 0xffffff80, vcc_lo
	v_cmp_class_f64_e64 vcc_lo, v[24:25], 0x260
	v_ldexp_f64 v[30:31], v[30:31], v34
	v_cndmask_b32_e32 v24, v30, v24, vcc_lo
	v_cndmask_b32_e32 v25, v31, v25, vcc_lo
	v_cmp_nge_f64_e32 vcc_lo, s[12:13], v[18:19]
	v_cndmask_b32_e32 v19, 0x3c18987c, v25, vcc_lo
	v_cndmask_b32_e32 v18, 0xee7f439d, v24, vcc_lo
	v_fma_f64 v[18:19], v[16:17], v[18:19], v[14:15]
	v_cndmask_b32_e64 v25, v19, 0, s1
	v_cndmask_b32_e64 v24, v18, 0, s1
	v_add_f64 v[20:21], v[20:21], v[24:25]
	v_mul_f64 v[18:19], v[20:21], -4.0
	v_ldexp_f64 v[20:21], -v[20:21], 3
	v_fma_f64 v[18:19], 0x40080000, v[22:23], v[18:19]
	v_fma_f64 v[20:21], 0x401c0000, v[22:23], v[20:21]
	;; [unrolled: 1-line block ×3, first 2 shown]
	v_add_f64 v[18:19], v[18:19], 0
	v_cmp_nlt_f64_e64 vcc_lo, |v[18:19]|, s[4:5]
	v_cndmask_b32_e32 v29, 0, v19, vcc_lo
	v_cndmask_b32_e32 v28, 0, v18, vcc_lo
	v_mul_f64 v[18:19], v[26:27], s[2:3]
	v_cmp_gt_f64_e32 vcc_lo, s[18:19], v[28:29]
	v_cndmask_b32_e64 v19, v19, 0x3fe55555, s0
	v_cndmask_b32_e64 v18, v18, 0x55555555, s0
	v_cndmask_b32_e64 v27, v29, s19, vcc_lo
	v_cndmask_b32_e64 v26, v28, s18, vcc_lo
	v_mul_f64 v[30:31], v[10:11], v[18:19]
	v_mul_f64 v[28:29], v[18:19], v[26:27]
	v_cmp_lt_f64_e64 s14, |v[28:29]|, s[6:7]
	s_or_b32 s14, s0, s14
	v_cndmask_b32_e64 v29, v29, 0, s14
	v_cndmask_b32_e64 v28, v28, 0, s14
	s_mov_b32 s14, s2
	v_cmp_gt_f64_e32 vcc_lo, s[16:17], v[28:29]
	v_cndmask_b32_e64 v29, v29, s17, vcc_lo
	v_cndmask_b32_e64 v28, v28, s16, vcc_lo
	v_mul_f64 v[32:33], v[30:31], v[28:29]
	v_fma_f64 v[32:33], v[26:27], s[2:3], v[32:33]
	v_div_scale_f64 v[34:35], null, s[20:21], s[20:21], v[32:33]
	v_div_scale_f64 v[40:41], vcc_lo, v[32:33], s[20:21], v[32:33]
	v_rcp_f64_e32 v[36:37], v[34:35]
	v_fma_f64 v[38:39], -v[34:35], v[36:37], 1.0
	v_fma_f64 v[36:37], v[36:37], v[38:39], v[36:37]
	v_fma_f64 v[38:39], -v[34:35], v[36:37], 1.0
	v_fma_f64 v[36:37], v[36:37], v[38:39], v[36:37]
	v_mul_f64 v[38:39], v[40:41], v[36:37]
	v_fma_f64 v[34:35], -v[34:35], v[38:39], v[40:41]
	v_div_fmas_f64 v[34:35], v[34:35], v[36:37], v[38:39]
	v_div_fixup_f64 v[32:33], v[34:35], s[20:21], v[32:33]
	v_cmp_gt_f64_e32 vcc_lo, 0x10000000, v[32:33]
	v_cndmask_b32_e64 v34, 0, 0x100, vcc_lo
	v_ldexp_f64 v[34:35], v[32:33], v34
	v_rsq_f64_e32 v[36:37], v[34:35]
	v_mul_f64 v[38:39], v[34:35], v[36:37]
	v_mul_f64 v[36:37], v[36:37], 0.5
	v_fma_f64 v[40:41], -v[36:37], v[38:39], 0.5
	v_fma_f64 v[38:39], v[38:39], v[40:41], v[38:39]
	v_fma_f64 v[36:37], v[36:37], v[40:41], v[36:37]
	v_fma_f64 v[40:41], -v[38:39], v[38:39], v[34:35]
	v_fma_f64 v[38:39], v[40:41], v[36:37], v[38:39]
	v_fma_f64 v[40:41], -v[38:39], v[38:39], v[34:35]
	v_fma_f64 v[36:37], v[40:41], v[36:37], v[38:39]
	v_cndmask_b32_e64 v38, 0, 0xffffff80, vcc_lo
	v_cmp_class_f64_e64 vcc_lo, v[34:35], 0x260
	v_ldexp_f64 v[36:37], v[36:37], v38
	v_cndmask_b32_e32 v34, v36, v34, vcc_lo
	v_cndmask_b32_e32 v35, v37, v35, vcc_lo
	v_cmp_nge_f64_e32 vcc_lo, s[12:13], v[32:33]
	v_cndmask_b32_e32 v33, 0x3c18987c, v35, vcc_lo
	v_cndmask_b32_e32 v32, 0xee7f439d, v34, vcc_lo
	v_fma_f64 v[32:33], v[16:17], v[32:33], v[14:15]
	v_cndmask_b32_e64 v33, v33, 0, s1
	v_cndmask_b32_e64 v32, v32, 0, s1
	v_add_f64 v[22:23], v[28:29], v[32:33]
	v_add_f64 v[20:21], v[20:21], v[22:23]
	v_mul_f64 v[20:21], v[12:13], v[20:21]
	v_fma_f64 v[20:21], v[20:21], s[14:15], v[26:27]
	v_cmp_nlt_f64_e64 vcc_lo, |v[20:21]|, s[4:5]
	v_cndmask_b32_e32 v21, 0, v21, vcc_lo
	v_cndmask_b32_e32 v20, 0, v20, vcc_lo
	v_cmp_gt_f64_e32 vcc_lo, s[18:19], v[20:21]
	v_cndmask_b32_e64 v21, v21, s19, vcc_lo
	v_cndmask_b32_e64 v20, v20, s18, vcc_lo
	v_mul_f64 v[22:23], v[18:19], v[20:21]
	v_cmp_lt_f64_e64 s1, |v[22:23]|, s[6:7]
	s_or_b32 s0, s0, s1
	v_cndmask_b32_e64 v23, v23, 0, s0
	v_cndmask_b32_e64 v22, v22, 0, s0
	v_cmp_gt_f64_e32 vcc_lo, s[16:17], v[22:23]
	v_cndmask_b32_e64 v23, v23, s17, vcc_lo
	v_cndmask_b32_e64 v22, v22, s16, vcc_lo
	v_mul_f64 v[26:27], v[30:31], v[22:23]
	v_fma_f64 v[26:27], v[20:21], s[2:3], v[26:27]
	v_div_scale_f64 v[28:29], null, s[20:21], s[20:21], v[26:27]
	v_div_scale_f64 v[34:35], vcc_lo, v[26:27], s[20:21], v[26:27]
	v_rcp_f64_e32 v[30:31], v[28:29]
	v_fma_f64 v[32:33], -v[28:29], v[30:31], 1.0
	v_fma_f64 v[30:31], v[30:31], v[32:33], v[30:31]
	v_fma_f64 v[32:33], -v[28:29], v[30:31], 1.0
	v_fma_f64 v[30:31], v[30:31], v[32:33], v[30:31]
	v_mul_f64 v[32:33], v[34:35], v[30:31]
	v_fma_f64 v[28:29], -v[28:29], v[32:33], v[34:35]
	v_div_fmas_f64 v[28:29], v[28:29], v[30:31], v[32:33]
	v_div_fixup_f64 v[26:27], v[28:29], s[20:21], v[26:27]
	v_cmp_gt_f64_e32 vcc_lo, 0x10000000, v[26:27]
	v_cndmask_b32_e64 v28, 0, 0x100, vcc_lo
	v_ldexp_f64 v[28:29], v[26:27], v28
	v_rsq_f64_e32 v[30:31], v[28:29]
	v_mul_f64 v[32:33], v[28:29], v[30:31]
	v_mul_f64 v[30:31], v[30:31], 0.5
	v_fma_f64 v[34:35], -v[30:31], v[32:33], 0.5
	v_fma_f64 v[32:33], v[32:33], v[34:35], v[32:33]
	v_fma_f64 v[30:31], v[30:31], v[34:35], v[30:31]
	v_fma_f64 v[34:35], -v[32:33], v[32:33], v[28:29]
	v_fma_f64 v[32:33], v[34:35], v[30:31], v[32:33]
	v_fma_f64 v[34:35], -v[32:33], v[32:33], v[28:29]
	v_fma_f64 v[30:31], v[34:35], v[30:31], v[32:33]
	v_cndmask_b32_e64 v32, 0, 0xffffff80, vcc_lo
	v_cmp_class_f64_e64 vcc_lo, v[28:29], 0x260
	v_ldexp_f64 v[30:31], v[30:31], v32
	v_cndmask_b32_e32 v28, v30, v28, vcc_lo
	v_cndmask_b32_e32 v29, v31, v29, vcc_lo
	v_cmp_nge_f64_e32 vcc_lo, s[12:13], v[26:27]
	v_cndmask_b32_e32 v27, 0x3c18987c, v29, vcc_lo
	v_cndmask_b32_e32 v26, 0xee7f439d, v28, vcc_lo
	v_cmp_nge_f64_e32 vcc_lo, 0, v[12:13]
	v_fma_f64 v[14:15], v[16:17], v[26:27], v[14:15]
	v_cmp_nlt_f64_e64 s0, |v[14:15]|, s[8:9]
	v_cndmask_b32_e32 v12, v14, v24, vcc_lo
	v_cndmask_b32_e32 v13, v15, v25, vcc_lo
	s_or_b32 vcc_lo, vcc_lo, s0
	v_cndmask_b32_e32 v13, 0, v13, vcc_lo
	v_cndmask_b32_e32 v12, 0, v12, vcc_lo
.LBB14_15:
	s_or_b32 exec_lo, exec_lo, s22
	v_mul_f64 v[10:11], v[10:11], v[18:19]
	s_mov_b32 s0, 0x55555555
	s_mov_b32 s1, 0x3fe55555
	v_mul_f64 v[10:11], v[10:11], v[22:23]
	v_fma_f64 v[10:11], v[20:21], s[0:1], v[10:11]
	s_mov_b32 s0, 0x2a37d1a0
	s_mov_b32 s1, 0x3842e792
	v_div_scale_f64 v[14:15], null, s[20:21], s[20:21], v[10:11]
	v_div_scale_f64 v[24:25], vcc_lo, v[10:11], s[20:21], v[10:11]
	v_rcp_f64_e32 v[16:17], v[14:15]
	v_fma_f64 v[18:19], -v[14:15], v[16:17], 1.0
	v_fma_f64 v[16:17], v[16:17], v[18:19], v[16:17]
	v_fma_f64 v[18:19], -v[14:15], v[16:17], 1.0
	v_fma_f64 v[16:17], v[16:17], v[18:19], v[16:17]
	v_mul_f64 v[18:19], v[24:25], v[16:17]
	v_fma_f64 v[14:15], -v[14:15], v[18:19], v[24:25]
	v_div_fmas_f64 v[14:15], v[14:15], v[16:17], v[18:19]
	v_div_fixup_f64 v[10:11], v[14:15], s[20:21], v[10:11]
	v_cmp_gt_f64_e32 vcc_lo, 0x10000000, v[10:11]
	v_cndmask_b32_e64 v14, 0, 0x100, vcc_lo
	v_ldexp_f64 v[14:15], v[10:11], v14
	v_rsq_f64_e32 v[16:17], v[14:15]
	v_mul_f64 v[18:19], v[14:15], v[16:17]
	v_mul_f64 v[16:17], v[16:17], 0.5
	v_fma_f64 v[24:25], -v[16:17], v[18:19], 0.5
	v_fma_f64 v[18:19], v[18:19], v[24:25], v[18:19]
	v_fma_f64 v[16:17], v[16:17], v[24:25], v[16:17]
	v_fma_f64 v[24:25], -v[18:19], v[18:19], v[14:15]
	v_fma_f64 v[18:19], v[24:25], v[16:17], v[18:19]
	v_fma_f64 v[24:25], -v[18:19], v[18:19], v[14:15]
	v_fma_f64 v[16:17], v[24:25], v[16:17], v[18:19]
	v_cndmask_b32_e64 v18, 0, 0xffffff80, vcc_lo
	v_cmp_class_f64_e64 vcc_lo, v[14:15], 0x260
	v_ldexp_f64 v[16:17], v[16:17], v18
	v_add_f64 v[18:19], v[2:3], -1.0
	v_cndmask_b32_e32 v14, v16, v14, vcc_lo
	v_cndmask_b32_e32 v15, v17, v15, vcc_lo
	v_cmp_nge_f64_e32 vcc_lo, s[0:1], v[10:11]
	v_cmp_nlt_f64_e64 s0, |v[18:19]|, s[10:11]
	s_waitcnt lgkmcnt(0)
	v_add_co_u32 v10, s1, s26, v0
	v_add_co_ci_u32_e64 v11, null, s27, v1, s1
	v_add_co_u32 v0, s1, s24, v0
	v_add_co_ci_u32_e64 v1, null, s25, v1, s1
	v_cndmask_b32_e32 v15, 0x3c18987c, v15, vcc_lo
	v_cndmask_b32_e32 v14, 0xee7f439d, v14, vcc_lo
	v_cndmask_b32_e64 v3, 0x3ff00000, v3, s0
	v_cndmask_b32_e64 v2, 0, v2, s0
	global_store_dwordx2 v[6:7], v[22:23], off
	global_store_dwordx2 v[4:5], v[20:21], off
	;; [unrolled: 1-line block ×5, first 2 shown]
.LBB14_16:
	s_endpgm
	.section	.rodata,"a",@progbits
	.p2align	6, 0x0
	.amdhsa_kernel _Z31applyMaterialPropertiesForElemsPKdS0_S0_PKiS2_PdS3_S3_S3_S3_S3_ddddddddddi
		.amdhsa_group_segment_fixed_size 0
		.amdhsa_private_segment_fixed_size 0
		.amdhsa_kernarg_size 432
		.amdhsa_user_sgpr_count 6
		.amdhsa_user_sgpr_private_segment_buffer 1
		.amdhsa_user_sgpr_dispatch_ptr 0
		.amdhsa_user_sgpr_queue_ptr 0
		.amdhsa_user_sgpr_kernarg_segment_ptr 1
		.amdhsa_user_sgpr_dispatch_id 0
		.amdhsa_user_sgpr_flat_scratch_init 0
		.amdhsa_user_sgpr_private_segment_size 0
		.amdhsa_wavefront_size32 1
		.amdhsa_uses_dynamic_stack 0
		.amdhsa_system_sgpr_private_segment_wavefront_offset 0
		.amdhsa_system_sgpr_workgroup_id_x 1
		.amdhsa_system_sgpr_workgroup_id_y 0
		.amdhsa_system_sgpr_workgroup_id_z 0
		.amdhsa_system_sgpr_workgroup_info 0
		.amdhsa_system_vgpr_workitem_id 0
		.amdhsa_next_free_vgpr 42
		.amdhsa_next_free_sgpr 28
		.amdhsa_reserve_vcc 1
		.amdhsa_reserve_flat_scratch 0
		.amdhsa_float_round_mode_32 0
		.amdhsa_float_round_mode_16_64 0
		.amdhsa_float_denorm_mode_32 3
		.amdhsa_float_denorm_mode_16_64 3
		.amdhsa_dx10_clamp 1
		.amdhsa_ieee_mode 1
		.amdhsa_fp16_overflow 0
		.amdhsa_workgroup_processor_mode 1
		.amdhsa_memory_ordered 1
		.amdhsa_forward_progress 1
		.amdhsa_shared_vgpr_count 0
		.amdhsa_exception_fp_ieee_invalid_op 0
		.amdhsa_exception_fp_denorm_src 0
		.amdhsa_exception_fp_ieee_div_zero 0
		.amdhsa_exception_fp_ieee_overflow 0
		.amdhsa_exception_fp_ieee_underflow 0
		.amdhsa_exception_fp_ieee_inexact 0
		.amdhsa_exception_int_div_zero 0
	.end_amdhsa_kernel
	.text
.Lfunc_end14:
	.size	_Z31applyMaterialPropertiesForElemsPKdS0_S0_PKiS2_PdS3_S3_S3_S3_S3_ddddddddddi, .Lfunc_end14-_Z31applyMaterialPropertiesForElemsPKdS0_S0_PKiS2_PdS3_S3_S3_S3_S3_ddddddddddi
                                        ; -- End function
	.set _Z31applyMaterialPropertiesForElemsPKdS0_S0_PKiS2_PdS3_S3_S3_S3_S3_ddddddddddi.num_vgpr, 42
	.set _Z31applyMaterialPropertiesForElemsPKdS0_S0_PKiS2_PdS3_S3_S3_S3_S3_ddddddddddi.num_agpr, 0
	.set _Z31applyMaterialPropertiesForElemsPKdS0_S0_PKiS2_PdS3_S3_S3_S3_S3_ddddddddddi.numbered_sgpr, 28
	.set _Z31applyMaterialPropertiesForElemsPKdS0_S0_PKiS2_PdS3_S3_S3_S3_S3_ddddddddddi.num_named_barrier, 0
	.set _Z31applyMaterialPropertiesForElemsPKdS0_S0_PKiS2_PdS3_S3_S3_S3_S3_ddddddddddi.private_seg_size, 0
	.set _Z31applyMaterialPropertiesForElemsPKdS0_S0_PKiS2_PdS3_S3_S3_S3_S3_ddddddddddi.uses_vcc, 1
	.set _Z31applyMaterialPropertiesForElemsPKdS0_S0_PKiS2_PdS3_S3_S3_S3_S3_ddddddddddi.uses_flat_scratch, 0
	.set _Z31applyMaterialPropertiesForElemsPKdS0_S0_PKiS2_PdS3_S3_S3_S3_S3_ddddddddddi.has_dyn_sized_stack, 0
	.set _Z31applyMaterialPropertiesForElemsPKdS0_S0_PKiS2_PdS3_S3_S3_S3_S3_ddddddddddi.has_recursion, 0
	.set _Z31applyMaterialPropertiesForElemsPKdS0_S0_PKiS2_PdS3_S3_S3_S3_S3_ddddddddddi.has_indirect_call, 0
	.section	.AMDGPU.csdata,"",@progbits
; Kernel info:
; codeLenInByte = 2788
; TotalNumSgprs: 30
; NumVgprs: 42
; ScratchSize: 0
; MemoryBound: 0
; FloatMode: 240
; IeeeMode: 1
; LDSByteSize: 0 bytes/workgroup (compile time only)
; SGPRBlocks: 0
; VGPRBlocks: 5
; NumSGPRsForWavesPerEU: 30
; NumVGPRsForWavesPerEU: 42
; Occupancy: 16
; WaveLimiterHint : 0
; COMPUTE_PGM_RSRC2:SCRATCH_EN: 0
; COMPUTE_PGM_RSRC2:USER_SGPR: 6
; COMPUTE_PGM_RSRC2:TRAP_HANDLER: 0
; COMPUTE_PGM_RSRC2:TGID_X_EN: 1
; COMPUTE_PGM_RSRC2:TGID_Y_EN: 0
; COMPUTE_PGM_RSRC2:TGID_Z_EN: 0
; COMPUTE_PGM_RSRC2:TIDIG_COMP_CNT: 0
	.text
	.p2alignl 6, 3214868480
	.fill 48, 4, 3214868480
	.section	.AMDGPU.gpr_maximums,"",@progbits
	.set amdgpu.max_num_vgpr, 0
	.set amdgpu.max_num_agpr, 0
	.set amdgpu.max_num_sgpr, 0
	.text
	.type	__hip_cuid_3e1d44144e1a246a,@object ; @__hip_cuid_3e1d44144e1a246a
	.section	.bss,"aw",@nobits
	.globl	__hip_cuid_3e1d44144e1a246a
__hip_cuid_3e1d44144e1a246a:
	.byte	0                               ; 0x0
	.size	__hip_cuid_3e1d44144e1a246a, 1

	.ident	"AMD clang version 22.0.0git (https://github.com/RadeonOpenCompute/llvm-project roc-7.2.4 26084 f58b06dce1f9c15707c5f808fd002e18c2accf7e)"
	.section	".note.GNU-stack","",@progbits
	.addrsig
	.addrsig_sym __hip_cuid_3e1d44144e1a246a
	.amdgpu_metadata
---
amdhsa.kernels:
  - .args:
      - .actual_access:  write_only
        .address_space:  global
        .offset:         0
        .size:           8
        .value_kind:     global_buffer
      - .actual_access:  write_only
        .address_space:  global
        .offset:         8
        .size:           8
        .value_kind:     global_buffer
      - .actual_access:  write_only
        .address_space:  global
        .offset:         16
        .size:           8
        .value_kind:     global_buffer
      - .actual_access:  read_only
        .address_space:  global
        .offset:         24
        .size:           8
        .value_kind:     global_buffer
      - .actual_access:  read_only
        .address_space:  global
        .offset:         32
        .size:           8
        .value_kind:     global_buffer
      - .offset:         40
        .size:           4
        .value_kind:     by_value
      - .offset:         48
        .size:           4
        .value_kind:     hidden_block_count_x
      - .offset:         52
        .size:           4
        .value_kind:     hidden_block_count_y
      - .offset:         56
        .size:           4
        .value_kind:     hidden_block_count_z
      - .offset:         60
        .size:           2
        .value_kind:     hidden_group_size_x
      - .offset:         62
        .size:           2
        .value_kind:     hidden_group_size_y
      - .offset:         64
        .size:           2
        .value_kind:     hidden_group_size_z
      - .offset:         66
        .size:           2
        .value_kind:     hidden_remainder_x
      - .offset:         68
        .size:           2
        .value_kind:     hidden_remainder_y
      - .offset:         70
        .size:           2
        .value_kind:     hidden_remainder_z
      - .offset:         88
        .size:           8
        .value_kind:     hidden_global_offset_x
      - .offset:         96
        .size:           8
        .value_kind:     hidden_global_offset_y
      - .offset:         104
        .size:           8
        .value_kind:     hidden_global_offset_z
      - .offset:         112
        .size:           2
        .value_kind:     hidden_grid_dims
    .group_segment_fixed_size: 0
    .kernarg_segment_align: 8
    .kernarg_segment_size: 304
    .language:       OpenCL C
    .language_version:
      - 2
      - 0
    .max_flat_workgroup_size: 1024
    .name:           _Z8fill_sigPdS_S_PKdS1_i
    .private_segment_fixed_size: 0
    .sgpr_count:     18
    .sgpr_spill_count: 0
    .symbol:         _Z8fill_sigPdS_S_PKdS1_i.kd
    .uniform_work_group_size: 1
    .uses_dynamic_stack: false
    .vgpr_count:     8
    .vgpr_spill_count: 0
    .wavefront_size: 32
    .workgroup_processor_mode: 1
  - .args:
      - .actual_access:  write_only
        .address_space:  global
        .offset:         0
        .size:           8
        .value_kind:     global_buffer
      - .actual_access:  write_only
        .address_space:  global
        .offset:         8
        .size:           8
        .value_kind:     global_buffer
      - .actual_access:  write_only
        .address_space:  global
        .offset:         16
        .size:           8
        .value_kind:     global_buffer
      - .actual_access:  read_only
        .address_space:  global
        .offset:         24
        .size:           8
        .value_kind:     global_buffer
      - .actual_access:  read_only
        .address_space:  global
        .offset:         32
        .size:           8
        .value_kind:     global_buffer
      - .actual_access:  read_only
        .address_space:  global
        .offset:         40
        .size:           8
        .value_kind:     global_buffer
      - .actual_access:  read_only
        .address_space:  global
        .offset:         48
        .size:           8
        .value_kind:     global_buffer
      - .actual_access:  read_only
        .address_space:  global
        .offset:         56
        .size:           8
        .value_kind:     global_buffer
      - .actual_access:  read_only
        .address_space:  global
        .offset:         64
        .size:           8
        .value_kind:     global_buffer
      - .actual_access:  read_only
        .address_space:  global
        .offset:         72
        .size:           8
        .value_kind:     global_buffer
      - .actual_access:  write_only
        .address_space:  global
        .offset:         80
        .size:           8
        .value_kind:     global_buffer
      - .offset:         88
        .size:           4
        .value_kind:     by_value
      - .offset:         96
        .size:           4
        .value_kind:     hidden_block_count_x
      - .offset:         100
        .size:           4
        .value_kind:     hidden_block_count_y
      - .offset:         104
        .size:           4
        .value_kind:     hidden_block_count_z
      - .offset:         108
        .size:           2
        .value_kind:     hidden_group_size_x
      - .offset:         110
        .size:           2
        .value_kind:     hidden_group_size_y
      - .offset:         112
        .size:           2
        .value_kind:     hidden_group_size_z
      - .offset:         114
        .size:           2
        .value_kind:     hidden_remainder_x
      - .offset:         116
        .size:           2
        .value_kind:     hidden_remainder_y
      - .offset:         118
        .size:           2
        .value_kind:     hidden_remainder_z
      - .offset:         136
        .size:           8
        .value_kind:     hidden_global_offset_x
      - .offset:         144
        .size:           8
        .value_kind:     hidden_global_offset_y
      - .offset:         152
        .size:           8
        .value_kind:     hidden_global_offset_z
      - .offset:         160
        .size:           2
        .value_kind:     hidden_grid_dims
    .group_segment_fixed_size: 0
    .kernarg_segment_align: 8
    .kernarg_segment_size: 352
    .language:       OpenCL C
    .language_version:
      - 2
      - 0
    .max_flat_workgroup_size: 1024
    .name:           _Z15integrateStressPdS_S_PKdS1_S1_PKiS1_S1_S1_S_i
    .private_segment_fixed_size: 0
    .sgpr_count:     26
    .sgpr_spill_count: 0
    .symbol:         _Z15integrateStressPdS_S_PKdS1_S1_PKiS1_S1_S1_S_i.kd
    .uniform_work_group_size: 1
    .uses_dynamic_stack: false
    .vgpr_count:     126
    .vgpr_spill_count: 0
    .wavefront_size: 32
    .workgroup_processor_mode: 1
  - .args:
      - .actual_access:  read_only
        .address_space:  global
        .offset:         0
        .size:           8
        .value_kind:     global_buffer
      - .actual_access:  read_only
        .address_space:  global
        .offset:         8
        .size:           8
        .value_kind:     global_buffer
      - .actual_access:  read_only
        .address_space:  global
        .offset:         16
        .size:           8
        .value_kind:     global_buffer
      - .actual_access:  write_only
        .address_space:  global
        .offset:         24
        .size:           8
        .value_kind:     global_buffer
      - .actual_access:  write_only
        .address_space:  global
        .offset:         32
        .size:           8
        .value_kind:     global_buffer
      - .actual_access:  write_only
        .address_space:  global
        .offset:         40
        .size:           8
        .value_kind:     global_buffer
      - .actual_access:  read_only
        .address_space:  global
        .offset:         48
        .size:           8
        .value_kind:     global_buffer
      - .actual_access:  read_only
        .address_space:  global
        .offset:         56
        .size:           8
        .value_kind:     global_buffer
      - .offset:         64
        .size:           4
        .value_kind:     by_value
      - .offset:         72
        .size:           4
        .value_kind:     hidden_block_count_x
      - .offset:         76
        .size:           4
        .value_kind:     hidden_block_count_y
      - .offset:         80
        .size:           4
        .value_kind:     hidden_block_count_z
      - .offset:         84
        .size:           2
        .value_kind:     hidden_group_size_x
      - .offset:         86
        .size:           2
        .value_kind:     hidden_group_size_y
      - .offset:         88
        .size:           2
        .value_kind:     hidden_group_size_z
      - .offset:         90
        .size:           2
        .value_kind:     hidden_remainder_x
      - .offset:         92
        .size:           2
        .value_kind:     hidden_remainder_y
      - .offset:         94
        .size:           2
        .value_kind:     hidden_remainder_z
      - .offset:         112
        .size:           8
        .value_kind:     hidden_global_offset_x
      - .offset:         120
        .size:           8
        .value_kind:     hidden_global_offset_y
      - .offset:         128
        .size:           8
        .value_kind:     hidden_global_offset_z
      - .offset:         136
        .size:           2
        .value_kind:     hidden_grid_dims
    .group_segment_fixed_size: 0
    .kernarg_segment_align: 8
    .kernarg_segment_size: 328
    .language:       OpenCL C
    .language_version:
      - 2
      - 0
    .max_flat_workgroup_size: 1024
    .name:           _Z15acc_final_forcePKdS0_S0_PdS1_S1_PKiS3_i
    .private_segment_fixed_size: 0
    .sgpr_count:     22
    .sgpr_spill_count: 0
    .symbol:         _Z15acc_final_forcePKdS0_S0_PdS1_S1_PKiS3_i.kd
    .uniform_work_group_size: 1
    .uses_dynamic_stack: false
    .vgpr_count:     17
    .vgpr_spill_count: 0
    .wavefront_size: 32
    .workgroup_processor_mode: 1
  - .args:
      - .actual_access:  write_only
        .address_space:  global
        .offset:         0
        .size:           8
        .value_kind:     global_buffer
      - .actual_access:  write_only
        .address_space:  global
        .offset:         8
        .size:           8
        .value_kind:     global_buffer
      - .actual_access:  write_only
        .address_space:  global
        .offset:         16
        .size:           8
        .value_kind:     global_buffer
      - .actual_access:  write_only
        .address_space:  global
        .offset:         24
        .size:           8
        .value_kind:     global_buffer
      - .actual_access:  write_only
        .address_space:  global
        .offset:         32
        .size:           8
        .value_kind:     global_buffer
      - .actual_access:  write_only
        .address_space:  global
        .offset:         40
        .size:           8
        .value_kind:     global_buffer
      - .actual_access:  write_only
        .address_space:  global
        .offset:         48
        .size:           8
        .value_kind:     global_buffer
      - .actual_access:  read_only
        .address_space:  global
        .offset:         56
        .size:           8
        .value_kind:     global_buffer
      - .actual_access:  read_only
        .address_space:  global
        .offset:         64
        .size:           8
        .value_kind:     global_buffer
      - .actual_access:  read_only
        .address_space:  global
        .offset:         72
        .size:           8
        .value_kind:     global_buffer
      - .actual_access:  read_only
        .address_space:  global
        .offset:         80
        .size:           8
        .value_kind:     global_buffer
      - .actual_access:  read_only
        .address_space:  global
        .offset:         88
        .size:           8
        .value_kind:     global_buffer
      - .actual_access:  read_only
        .address_space:  global
        .offset:         96
        .size:           8
        .value_kind:     global_buffer
      - .actual_access:  write_only
        .address_space:  global
        .offset:         104
        .size:           8
        .value_kind:     global_buffer
      - .offset:         112
        .size:           4
        .value_kind:     by_value
      - .offset:         120
        .size:           4
        .value_kind:     hidden_block_count_x
      - .offset:         124
        .size:           4
        .value_kind:     hidden_block_count_y
      - .offset:         128
        .size:           4
        .value_kind:     hidden_block_count_z
      - .offset:         132
        .size:           2
        .value_kind:     hidden_group_size_x
      - .offset:         134
        .size:           2
        .value_kind:     hidden_group_size_y
      - .offset:         136
        .size:           2
        .value_kind:     hidden_group_size_z
      - .offset:         138
        .size:           2
        .value_kind:     hidden_remainder_x
      - .offset:         140
        .size:           2
        .value_kind:     hidden_remainder_y
      - .offset:         142
        .size:           2
        .value_kind:     hidden_remainder_z
      - .offset:         160
        .size:           8
        .value_kind:     hidden_global_offset_x
      - .offset:         168
        .size:           8
        .value_kind:     hidden_global_offset_y
      - .offset:         176
        .size:           8
        .value_kind:     hidden_global_offset_z
      - .offset:         184
        .size:           2
        .value_kind:     hidden_grid_dims
    .group_segment_fixed_size: 0
    .kernarg_segment_align: 8
    .kernarg_segment_size: 376
    .language:       OpenCL C
    .language_version:
      - 2
      - 0
    .max_flat_workgroup_size: 1024
    .name:           _Z3hgcPdS_S_S_S_S_S_PKdS1_S1_PKiS1_S1_Pii
    .private_segment_fixed_size: 0
    .sgpr_count:     34
    .sgpr_spill_count: 0
    .symbol:         _Z3hgcPdS_S_S_S_S_S_PKdS1_S1_PKiS1_S1_Pii.kd
    .uniform_work_group_size: 1
    .uses_dynamic_stack: false
    .vgpr_count:     110
    .vgpr_spill_count: 0
    .wavefront_size: 32
    .workgroup_processor_mode: 1
  - .args:
      - .actual_access:  read_only
        .address_space:  global
        .offset:         0
        .size:           8
        .value_kind:     global_buffer
      - .actual_access:  read_only
        .address_space:  global
        .offset:         8
        .size:           8
        .value_kind:     global_buffer
      - .actual_access:  read_only
        .address_space:  global
        .offset:         16
        .size:           8
        .value_kind:     global_buffer
      - .actual_access:  read_only
        .address_space:  global
        .offset:         24
        .size:           8
        .value_kind:     global_buffer
      - .actual_access:  read_only
        .address_space:  global
        .offset:         32
        .size:           8
        .value_kind:     global_buffer
      - .actual_access:  read_only
        .address_space:  global
        .offset:         40
        .size:           8
        .value_kind:     global_buffer
      - .actual_access:  read_only
        .address_space:  global
        .offset:         48
        .size:           8
        .value_kind:     global_buffer
      - .actual_access:  read_only
        .address_space:  global
        .offset:         56
        .size:           8
        .value_kind:     global_buffer
      - .actual_access:  read_only
        .address_space:  global
        .offset:         64
        .size:           8
        .value_kind:     global_buffer
      - .actual_access:  read_only
        .address_space:  global
        .offset:         72
        .size:           8
        .value_kind:     global_buffer
      - .actual_access:  read_only
        .address_space:  global
        .offset:         80
        .size:           8
        .value_kind:     global_buffer
      - .actual_access:  read_only
        .address_space:  global
        .offset:         88
        .size:           8
        .value_kind:     global_buffer
      - .actual_access:  read_only
        .address_space:  global
        .offset:         96
        .size:           8
        .value_kind:     global_buffer
      - .actual_access:  read_only
        .address_space:  global
        .offset:         104
        .size:           8
        .value_kind:     global_buffer
      - .actual_access:  write_only
        .address_space:  global
        .offset:         112
        .size:           8
        .value_kind:     global_buffer
      - .actual_access:  write_only
        .address_space:  global
        .offset:         120
        .size:           8
        .value_kind:     global_buffer
      - .actual_access:  write_only
        .address_space:  global
        .offset:         128
        .size:           8
        .value_kind:     global_buffer
      - .offset:         136
        .size:           8
        .value_kind:     by_value
      - .offset:         144
        .size:           4
        .value_kind:     by_value
      - .offset:         152
        .size:           4
        .value_kind:     hidden_block_count_x
      - .offset:         156
        .size:           4
        .value_kind:     hidden_block_count_y
      - .offset:         160
        .size:           4
        .value_kind:     hidden_block_count_z
      - .offset:         164
        .size:           2
        .value_kind:     hidden_group_size_x
      - .offset:         166
        .size:           2
        .value_kind:     hidden_group_size_y
      - .offset:         168
        .size:           2
        .value_kind:     hidden_group_size_z
      - .offset:         170
        .size:           2
        .value_kind:     hidden_remainder_x
      - .offset:         172
        .size:           2
        .value_kind:     hidden_remainder_y
      - .offset:         174
        .size:           2
        .value_kind:     hidden_remainder_z
      - .offset:         192
        .size:           8
        .value_kind:     hidden_global_offset_x
      - .offset:         200
        .size:           8
        .value_kind:     hidden_global_offset_y
      - .offset:         208
        .size:           8
        .value_kind:     hidden_global_offset_z
      - .offset:         216
        .size:           2
        .value_kind:     hidden_grid_dims
    .group_segment_fixed_size: 0
    .kernarg_segment_align: 8
    .kernarg_segment_size: 408
    .language:       OpenCL C
    .language_version:
      - 2
      - 0
    .max_flat_workgroup_size: 1024
    .name:           _Z2fbPKdS0_S0_S0_S0_S0_S0_S0_S0_S0_S0_S0_PKiS0_PdS3_S3_di
    .private_segment_fixed_size: 0
    .sgpr_count:     94
    .sgpr_spill_count: 0
    .symbol:         _Z2fbPKdS0_S0_S0_S0_S0_S0_S0_S0_S0_S0_S0_PKiS0_PdS3_S3_di.kd
    .uniform_work_group_size: 1
    .uses_dynamic_stack: false
    .vgpr_count:     120
    .vgpr_spill_count: 0
    .wavefront_size: 32
    .workgroup_processor_mode: 1
  - .args:
      - .actual_access:  read_only
        .address_space:  global
        .offset:         0
        .size:           8
        .value_kind:     global_buffer
      - .actual_access:  read_only
        .address_space:  global
        .offset:         8
        .size:           8
        .value_kind:     global_buffer
      - .actual_access:  read_only
        .address_space:  global
        .offset:         16
        .size:           8
        .value_kind:     global_buffer
      - .actual_access:  write_only
        .address_space:  global
        .offset:         24
        .size:           8
        .value_kind:     global_buffer
      - .actual_access:  write_only
        .address_space:  global
        .offset:         32
        .size:           8
        .value_kind:     global_buffer
      - .actual_access:  write_only
        .address_space:  global
        .offset:         40
        .size:           8
        .value_kind:     global_buffer
      - .actual_access:  read_only
        .address_space:  global
        .offset:         48
        .size:           8
        .value_kind:     global_buffer
      - .actual_access:  read_only
        .address_space:  global
        .offset:         56
        .size:           8
        .value_kind:     global_buffer
      - .offset:         64
        .size:           4
        .value_kind:     by_value
      - .offset:         72
        .size:           4
        .value_kind:     hidden_block_count_x
      - .offset:         76
        .size:           4
        .value_kind:     hidden_block_count_y
      - .offset:         80
        .size:           4
        .value_kind:     hidden_block_count_z
      - .offset:         84
        .size:           2
        .value_kind:     hidden_group_size_x
      - .offset:         86
        .size:           2
        .value_kind:     hidden_group_size_y
      - .offset:         88
        .size:           2
        .value_kind:     hidden_group_size_z
      - .offset:         90
        .size:           2
        .value_kind:     hidden_remainder_x
      - .offset:         92
        .size:           2
        .value_kind:     hidden_remainder_y
      - .offset:         94
        .size:           2
        .value_kind:     hidden_remainder_z
      - .offset:         112
        .size:           8
        .value_kind:     hidden_global_offset_x
      - .offset:         120
        .size:           8
        .value_kind:     hidden_global_offset_y
      - .offset:         128
        .size:           8
        .value_kind:     hidden_global_offset_z
      - .offset:         136
        .size:           2
        .value_kind:     hidden_grid_dims
    .group_segment_fixed_size: 0
    .kernarg_segment_align: 8
    .kernarg_segment_size: 328
    .language:       OpenCL C
    .language_version:
      - 2
      - 0
    .max_flat_workgroup_size: 1024
    .name:           _Z19collect_final_forcePKdS0_S0_PdS1_S1_PKiS3_i
    .private_segment_fixed_size: 0
    .sgpr_count:     22
    .sgpr_spill_count: 0
    .symbol:         _Z19collect_final_forcePKdS0_S0_PdS1_S1_PKiS3_i.kd
    .uniform_work_group_size: 1
    .uses_dynamic_stack: false
    .vgpr_count:     17
    .vgpr_spill_count: 0
    .wavefront_size: 32
    .workgroup_processor_mode: 1
  - .args:
      - .actual_access:  read_only
        .address_space:  global
        .offset:         0
        .size:           8
        .value_kind:     global_buffer
      - .actual_access:  read_only
        .address_space:  global
        .offset:         8
        .size:           8
        .value_kind:     global_buffer
      - .actual_access:  read_only
        .address_space:  global
        .offset:         16
        .size:           8
        .value_kind:     global_buffer
      - .actual_access:  read_only
        .address_space:  global
        .offset:         24
        .size:           8
        .value_kind:     global_buffer
      - .actual_access:  write_only
        .address_space:  global
        .offset:         32
        .size:           8
        .value_kind:     global_buffer
      - .actual_access:  write_only
        .address_space:  global
        .offset:         40
        .size:           8
        .value_kind:     global_buffer
      - .actual_access:  write_only
        .address_space:  global
        .offset:         48
        .size:           8
        .value_kind:     global_buffer
      - .offset:         56
        .size:           4
        .value_kind:     by_value
      - .offset:         64
        .size:           4
        .value_kind:     hidden_block_count_x
      - .offset:         68
        .size:           4
        .value_kind:     hidden_block_count_y
      - .offset:         72
        .size:           4
        .value_kind:     hidden_block_count_z
      - .offset:         76
        .size:           2
        .value_kind:     hidden_group_size_x
      - .offset:         78
        .size:           2
        .value_kind:     hidden_group_size_y
      - .offset:         80
        .size:           2
        .value_kind:     hidden_group_size_z
      - .offset:         82
        .size:           2
        .value_kind:     hidden_remainder_x
      - .offset:         84
        .size:           2
        .value_kind:     hidden_remainder_y
      - .offset:         86
        .size:           2
        .value_kind:     hidden_remainder_z
      - .offset:         104
        .size:           8
        .value_kind:     hidden_global_offset_x
      - .offset:         112
        .size:           8
        .value_kind:     hidden_global_offset_y
      - .offset:         120
        .size:           8
        .value_kind:     hidden_global_offset_z
      - .offset:         128
        .size:           2
        .value_kind:     hidden_grid_dims
    .group_segment_fixed_size: 0
    .kernarg_segment_align: 8
    .kernarg_segment_size: 320
    .language:       OpenCL C
    .language_version:
      - 2
      - 0
    .max_flat_workgroup_size: 1024
    .name:           _Z19accelerationForNodePKdS0_S0_S0_PdS1_S1_i
    .private_segment_fixed_size: 0
    .sgpr_count:     18
    .sgpr_spill_count: 0
    .symbol:         _Z19accelerationForNodePKdS0_S0_S0_PdS1_S1_i.kd
    .uniform_work_group_size: 1
    .uses_dynamic_stack: false
    .vgpr_count:     18
    .vgpr_spill_count: 0
    .wavefront_size: 32
    .workgroup_processor_mode: 1
  - .args:
      - .actual_access:  read_only
        .address_space:  global
        .offset:         0
        .size:           8
        .value_kind:     global_buffer
      - .actual_access:  read_only
        .address_space:  global
        .offset:         8
        .size:           8
        .value_kind:     global_buffer
      - .actual_access:  read_only
        .address_space:  global
        .offset:         16
        .size:           8
        .value_kind:     global_buffer
      - .actual_access:  write_only
        .address_space:  global
        .offset:         24
        .size:           8
        .value_kind:     global_buffer
      - .actual_access:  write_only
        .address_space:  global
        .offset:         32
        .size:           8
        .value_kind:     global_buffer
      - .actual_access:  write_only
        .address_space:  global
        .offset:         40
        .size:           8
        .value_kind:     global_buffer
      - .offset:         48
        .size:           4
        .value_kind:     by_value
      - .offset:         52
        .size:           4
        .value_kind:     by_value
      - .offset:         56
        .size:           4
        .value_kind:     by_value
      - .offset:         60
        .size:           4
        .value_kind:     by_value
      - .offset:         64
        .size:           4
        .value_kind:     hidden_block_count_x
      - .offset:         68
        .size:           4
        .value_kind:     hidden_block_count_y
      - .offset:         72
        .size:           4
        .value_kind:     hidden_block_count_z
      - .offset:         76
        .size:           2
        .value_kind:     hidden_group_size_x
      - .offset:         78
        .size:           2
        .value_kind:     hidden_group_size_y
      - .offset:         80
        .size:           2
        .value_kind:     hidden_group_size_z
      - .offset:         82
        .size:           2
        .value_kind:     hidden_remainder_x
      - .offset:         84
        .size:           2
        .value_kind:     hidden_remainder_y
      - .offset:         86
        .size:           2
        .value_kind:     hidden_remainder_z
      - .offset:         104
        .size:           8
        .value_kind:     hidden_global_offset_x
      - .offset:         112
        .size:           8
        .value_kind:     hidden_global_offset_y
      - .offset:         120
        .size:           8
        .value_kind:     hidden_global_offset_z
      - .offset:         128
        .size:           2
        .value_kind:     hidden_grid_dims
    .group_segment_fixed_size: 0
    .kernarg_segment_align: 8
    .kernarg_segment_size: 320
    .language:       OpenCL C
    .language_version:
      - 2
      - 0
    .max_flat_workgroup_size: 1024
    .name:           _Z43applyAccelerationBoundaryConditionsForNodesPKiS0_S0_PdS1_S1_iiii
    .private_segment_fixed_size: 0
    .sgpr_count:     12
    .sgpr_spill_count: 0
    .symbol:         _Z43applyAccelerationBoundaryConditionsForNodesPKiS0_S0_PdS1_S1_iiii.kd
    .uniform_work_group_size: 1
    .uses_dynamic_stack: false
    .vgpr_count:     5
    .vgpr_spill_count: 0
    .wavefront_size: 32
    .workgroup_processor_mode: 1
  - .args:
      - .address_space:  global
        .offset:         0
        .size:           8
        .value_kind:     global_buffer
      - .address_space:  global
        .offset:         8
        .size:           8
        .value_kind:     global_buffer
      - .address_space:  global
        .offset:         16
        .size:           8
        .value_kind:     global_buffer
      - .actual_access:  read_only
        .address_space:  global
        .offset:         24
        .size:           8
        .value_kind:     global_buffer
      - .actual_access:  read_only
        .address_space:  global
        .offset:         32
        .size:           8
        .value_kind:     global_buffer
      - .actual_access:  read_only
        .address_space:  global
        .offset:         40
        .size:           8
        .value_kind:     global_buffer
      - .offset:         48
        .size:           8
        .value_kind:     by_value
      - .offset:         56
        .size:           8
        .value_kind:     by_value
      - .offset:         64
        .size:           4
        .value_kind:     by_value
      - .offset:         72
        .size:           4
        .value_kind:     hidden_block_count_x
      - .offset:         76
        .size:           4
        .value_kind:     hidden_block_count_y
      - .offset:         80
        .size:           4
        .value_kind:     hidden_block_count_z
      - .offset:         84
        .size:           2
        .value_kind:     hidden_group_size_x
      - .offset:         86
        .size:           2
        .value_kind:     hidden_group_size_y
      - .offset:         88
        .size:           2
        .value_kind:     hidden_group_size_z
      - .offset:         90
        .size:           2
        .value_kind:     hidden_remainder_x
      - .offset:         92
        .size:           2
        .value_kind:     hidden_remainder_y
      - .offset:         94
        .size:           2
        .value_kind:     hidden_remainder_z
      - .offset:         112
        .size:           8
        .value_kind:     hidden_global_offset_x
      - .offset:         120
        .size:           8
        .value_kind:     hidden_global_offset_y
      - .offset:         128
        .size:           8
        .value_kind:     hidden_global_offset_z
      - .offset:         136
        .size:           2
        .value_kind:     hidden_grid_dims
    .group_segment_fixed_size: 0
    .kernarg_segment_align: 8
    .kernarg_segment_size: 328
    .language:       OpenCL C
    .language_version:
      - 2
      - 0
    .max_flat_workgroup_size: 1024
    .name:           _Z20calcVelocityForNodesPdS_S_PKdS1_S1_ddi
    .private_segment_fixed_size: 0
    .sgpr_count:     18
    .sgpr_spill_count: 0
    .symbol:         _Z20calcVelocityForNodesPdS_S_PKdS1_S1_ddi.kd
    .uniform_work_group_size: 1
    .uses_dynamic_stack: false
    .vgpr_count:     18
    .vgpr_spill_count: 0
    .wavefront_size: 32
    .workgroup_processor_mode: 1
  - .args:
      - .address_space:  global
        .offset:         0
        .size:           8
        .value_kind:     global_buffer
      - .address_space:  global
        .offset:         8
        .size:           8
        .value_kind:     global_buffer
      - .address_space:  global
        .offset:         16
        .size:           8
        .value_kind:     global_buffer
      - .actual_access:  read_only
        .address_space:  global
        .offset:         24
        .size:           8
        .value_kind:     global_buffer
      - .actual_access:  read_only
        .address_space:  global
        .offset:         32
        .size:           8
        .value_kind:     global_buffer
      - .actual_access:  read_only
        .address_space:  global
        .offset:         40
        .size:           8
        .value_kind:     global_buffer
      - .offset:         48
        .size:           8
        .value_kind:     by_value
      - .offset:         56
        .size:           4
        .value_kind:     by_value
      - .offset:         64
        .size:           4
        .value_kind:     hidden_block_count_x
      - .offset:         68
        .size:           4
        .value_kind:     hidden_block_count_y
      - .offset:         72
        .size:           4
        .value_kind:     hidden_block_count_z
      - .offset:         76
        .size:           2
        .value_kind:     hidden_group_size_x
      - .offset:         78
        .size:           2
        .value_kind:     hidden_group_size_y
      - .offset:         80
        .size:           2
        .value_kind:     hidden_group_size_z
      - .offset:         82
        .size:           2
        .value_kind:     hidden_remainder_x
      - .offset:         84
        .size:           2
        .value_kind:     hidden_remainder_y
      - .offset:         86
        .size:           2
        .value_kind:     hidden_remainder_z
      - .offset:         104
        .size:           8
        .value_kind:     hidden_global_offset_x
      - .offset:         112
        .size:           8
        .value_kind:     hidden_global_offset_y
      - .offset:         120
        .size:           8
        .value_kind:     hidden_global_offset_z
      - .offset:         128
        .size:           2
        .value_kind:     hidden_grid_dims
    .group_segment_fixed_size: 0
    .kernarg_segment_align: 8
    .kernarg_segment_size: 320
    .language:       OpenCL C
    .language_version:
      - 2
      - 0
    .max_flat_workgroup_size: 1024
    .name:           _Z20calcPositionForNodesPdS_S_PKdS1_S1_di
    .private_segment_fixed_size: 0
    .sgpr_count:     18
    .sgpr_spill_count: 0
    .symbol:         _Z20calcPositionForNodesPdS_S_PKdS1_S1_di.kd
    .uniform_work_group_size: 1
    .uses_dynamic_stack: false
    .vgpr_count:     18
    .vgpr_spill_count: 0
    .wavefront_size: 32
    .workgroup_processor_mode: 1
  - .args:
      - .actual_access:  read_only
        .address_space:  global
        .offset:         0
        .size:           8
        .value_kind:     global_buffer
      - .actual_access:  read_only
        .address_space:  global
        .offset:         8
        .size:           8
        .value_kind:     global_buffer
      - .actual_access:  read_only
        .address_space:  global
        .offset:         16
        .size:           8
        .value_kind:     global_buffer
      - .actual_access:  read_only
        .address_space:  global
        .offset:         24
        .size:           8
        .value_kind:     global_buffer
      - .actual_access:  read_only
        .address_space:  global
        .offset:         32
        .size:           8
        .value_kind:     global_buffer
      - .actual_access:  read_only
        .address_space:  global
        .offset:         40
        .size:           8
        .value_kind:     global_buffer
      - .actual_access:  read_only
        .address_space:  global
        .offset:         48
        .size:           8
        .value_kind:     global_buffer
      - .actual_access:  read_only
        .address_space:  global
        .offset:         56
        .size:           8
        .value_kind:     global_buffer
      - .actual_access:  read_only
        .address_space:  global
        .offset:         64
        .size:           8
        .value_kind:     global_buffer
      - .actual_access:  write_only
        .address_space:  global
        .offset:         72
        .size:           8
        .value_kind:     global_buffer
      - .actual_access:  write_only
        .address_space:  global
        .offset:         80
        .size:           8
        .value_kind:     global_buffer
      - .actual_access:  write_only
        .address_space:  global
        .offset:         88
        .size:           8
        .value_kind:     global_buffer
      - .actual_access:  write_only
        .address_space:  global
        .offset:         96
        .size:           8
        .value_kind:     global_buffer
      - .actual_access:  write_only
        .address_space:  global
        .offset:         104
        .size:           8
        .value_kind:     global_buffer
      - .actual_access:  write_only
        .address_space:  global
        .offset:         112
        .size:           8
        .value_kind:     global_buffer
      - .offset:         120
        .size:           8
        .value_kind:     by_value
      - .offset:         128
        .size:           4
        .value_kind:     by_value
      - .offset:         136
        .size:           4
        .value_kind:     hidden_block_count_x
      - .offset:         140
        .size:           4
        .value_kind:     hidden_block_count_y
      - .offset:         144
        .size:           4
        .value_kind:     hidden_block_count_z
      - .offset:         148
        .size:           2
        .value_kind:     hidden_group_size_x
      - .offset:         150
        .size:           2
        .value_kind:     hidden_group_size_y
      - .offset:         152
        .size:           2
        .value_kind:     hidden_group_size_z
      - .offset:         154
        .size:           2
        .value_kind:     hidden_remainder_x
      - .offset:         156
        .size:           2
        .value_kind:     hidden_remainder_y
      - .offset:         158
        .size:           2
        .value_kind:     hidden_remainder_z
      - .offset:         176
        .size:           8
        .value_kind:     hidden_global_offset_x
      - .offset:         184
        .size:           8
        .value_kind:     hidden_global_offset_y
      - .offset:         192
        .size:           8
        .value_kind:     hidden_global_offset_z
      - .offset:         200
        .size:           2
        .value_kind:     hidden_grid_dims
    .group_segment_fixed_size: 0
    .kernarg_segment_align: 8
    .kernarg_segment_size: 392
    .language:       OpenCL C
    .language_version:
      - 2
      - 0
    .max_flat_workgroup_size: 1024
    .name:           _Z22calcKinematicsForElemsPKdS0_S0_S0_S0_S0_PKiS0_S0_PdS3_S3_S3_S3_S3_di
    .private_segment_fixed_size: 12
    .sgpr_count:     42
    .sgpr_spill_count: 0
    .symbol:         _Z22calcKinematicsForElemsPKdS0_S0_S0_S0_S0_PKiS0_S0_PdS3_S3_S3_S3_S3_di.kd
    .uniform_work_group_size: 1
    .uses_dynamic_stack: false
    .vgpr_count:     127
    .vgpr_spill_count: 2
    .wavefront_size: 32
    .workgroup_processor_mode: 1
  - .args:
      - .address_space:  global
        .offset:         0
        .size:           8
        .value_kind:     global_buffer
      - .address_space:  global
        .offset:         8
        .size:           8
        .value_kind:     global_buffer
      - .address_space:  global
        .offset:         16
        .size:           8
        .value_kind:     global_buffer
      - .actual_access:  read_only
        .address_space:  global
        .offset:         24
        .size:           8
        .value_kind:     global_buffer
      - .actual_access:  write_only
        .address_space:  global
        .offset:         32
        .size:           8
        .value_kind:     global_buffer
      - .actual_access:  write_only
        .address_space:  global
        .offset:         40
        .size:           8
        .value_kind:     global_buffer
      - .offset:         48
        .size:           4
        .value_kind:     by_value
      - .offset:         56
        .size:           4
        .value_kind:     hidden_block_count_x
      - .offset:         60
        .size:           4
        .value_kind:     hidden_block_count_y
      - .offset:         64
        .size:           4
        .value_kind:     hidden_block_count_z
      - .offset:         68
        .size:           2
        .value_kind:     hidden_group_size_x
      - .offset:         70
        .size:           2
        .value_kind:     hidden_group_size_y
      - .offset:         72
        .size:           2
        .value_kind:     hidden_group_size_z
      - .offset:         74
        .size:           2
        .value_kind:     hidden_remainder_x
      - .offset:         76
        .size:           2
        .value_kind:     hidden_remainder_y
      - .offset:         78
        .size:           2
        .value_kind:     hidden_remainder_z
      - .offset:         96
        .size:           8
        .value_kind:     hidden_global_offset_x
      - .offset:         104
        .size:           8
        .value_kind:     hidden_global_offset_y
      - .offset:         112
        .size:           8
        .value_kind:     hidden_global_offset_z
      - .offset:         120
        .size:           2
        .value_kind:     hidden_grid_dims
    .group_segment_fixed_size: 0
    .kernarg_segment_align: 8
    .kernarg_segment_size: 312
    .language:       OpenCL C
    .language_version:
      - 2
      - 0
    .max_flat_workgroup_size: 1024
    .name:           _Z15calcStrainRatesPdS_S_PKdS_Pii
    .private_segment_fixed_size: 0
    .sgpr_count:     18
    .sgpr_spill_count: 0
    .symbol:         _Z15calcStrainRatesPdS_S_PKdS_Pii.kd
    .uniform_work_group_size: 1
    .uses_dynamic_stack: false
    .vgpr_count:     27
    .vgpr_spill_count: 0
    .wavefront_size: 32
    .workgroup_processor_mode: 1
  - .args:
      - .actual_access:  read_only
        .address_space:  global
        .offset:         0
        .size:           8
        .value_kind:     global_buffer
      - .actual_access:  read_only
        .address_space:  global
        .offset:         8
        .size:           8
        .value_kind:     global_buffer
      - .actual_access:  read_only
        .address_space:  global
        .offset:         16
        .size:           8
        .value_kind:     global_buffer
      - .actual_access:  read_only
        .address_space:  global
        .offset:         24
        .size:           8
        .value_kind:     global_buffer
      - .actual_access:  read_only
        .address_space:  global
        .offset:         32
        .size:           8
        .value_kind:     global_buffer
      - .actual_access:  read_only
        .address_space:  global
        .offset:         40
        .size:           8
        .value_kind:     global_buffer
      - .actual_access:  read_only
        .address_space:  global
        .offset:         48
        .size:           8
        .value_kind:     global_buffer
      - .actual_access:  read_only
        .address_space:  global
        .offset:         56
        .size:           8
        .value_kind:     global_buffer
      - .actual_access:  write_only
        .address_space:  global
        .offset:         64
        .size:           8
        .value_kind:     global_buffer
      - .actual_access:  write_only
        .address_space:  global
        .offset:         72
        .size:           8
        .value_kind:     global_buffer
      - .actual_access:  write_only
        .address_space:  global
        .offset:         80
        .size:           8
        .value_kind:     global_buffer
      - .actual_access:  write_only
        .address_space:  global
        .offset:         88
        .size:           8
        .value_kind:     global_buffer
      - .actual_access:  write_only
        .address_space:  global
        .offset:         96
        .size:           8
        .value_kind:     global_buffer
      - .actual_access:  write_only
        .address_space:  global
        .offset:         104
        .size:           8
        .value_kind:     global_buffer
      - .actual_access:  read_only
        .address_space:  global
        .offset:         112
        .size:           8
        .value_kind:     global_buffer
      - .offset:         120
        .size:           4
        .value_kind:     by_value
      - .offset:         128
        .size:           4
        .value_kind:     hidden_block_count_x
      - .offset:         132
        .size:           4
        .value_kind:     hidden_block_count_y
      - .offset:         136
        .size:           4
        .value_kind:     hidden_block_count_z
      - .offset:         140
        .size:           2
        .value_kind:     hidden_group_size_x
      - .offset:         142
        .size:           2
        .value_kind:     hidden_group_size_y
      - .offset:         144
        .size:           2
        .value_kind:     hidden_group_size_z
      - .offset:         146
        .size:           2
        .value_kind:     hidden_remainder_x
      - .offset:         148
        .size:           2
        .value_kind:     hidden_remainder_y
      - .offset:         150
        .size:           2
        .value_kind:     hidden_remainder_z
      - .offset:         168
        .size:           8
        .value_kind:     hidden_global_offset_x
      - .offset:         176
        .size:           8
        .value_kind:     hidden_global_offset_y
      - .offset:         184
        .size:           8
        .value_kind:     hidden_global_offset_z
      - .offset:         192
        .size:           2
        .value_kind:     hidden_grid_dims
    .group_segment_fixed_size: 0
    .kernarg_segment_align: 8
    .kernarg_segment_size: 384
    .language:       OpenCL C
    .language_version:
      - 2
      - 0
    .max_flat_workgroup_size: 1024
    .name:           _Z31calcMonotonicQGradientsForElemsPKdS0_S0_S0_S0_S0_PKiS0_PdS3_S3_S3_S3_S3_S0_i
    .private_segment_fixed_size: 0
    .sgpr_count:     26
    .sgpr_spill_count: 0
    .symbol:         _Z31calcMonotonicQGradientsForElemsPKdS0_S0_S0_S0_S0_PKiS0_PdS3_S3_S3_S3_S3_S0_i.kd
    .uniform_work_group_size: 1
    .uses_dynamic_stack: false
    .vgpr_count:     94
    .vgpr_spill_count: 0
    .wavefront_size: 32
    .workgroup_processor_mode: 1
  - .args:
      - .actual_access:  read_only
        .address_space:  global
        .offset:         0
        .size:           8
        .value_kind:     global_buffer
      - .actual_access:  read_only
        .address_space:  global
        .offset:         8
        .size:           8
        .value_kind:     global_buffer
      - .actual_access:  write_only
        .address_space:  global
        .offset:         16
        .size:           8
        .value_kind:     global_buffer
      - .actual_access:  write_only
        .address_space:  global
        .offset:         24
        .size:           8
        .value_kind:     global_buffer
      - .actual_access:  read_only
        .address_space:  global
        .offset:         32
        .size:           8
        .value_kind:     global_buffer
      - .actual_access:  read_only
        .address_space:  global
        .offset:         40
        .size:           8
        .value_kind:     global_buffer
      - .actual_access:  read_only
        .address_space:  global
        .offset:         48
        .size:           8
        .value_kind:     global_buffer
      - .actual_access:  read_only
        .address_space:  global
        .offset:         56
        .size:           8
        .value_kind:     global_buffer
      - .actual_access:  read_only
        .address_space:  global
        .offset:         64
        .size:           8
        .value_kind:     global_buffer
      - .actual_access:  read_only
        .address_space:  global
        .offset:         72
        .size:           8
        .value_kind:     global_buffer
      - .actual_access:  read_only
        .address_space:  global
        .offset:         80
        .size:           8
        .value_kind:     global_buffer
      - .actual_access:  read_only
        .address_space:  global
        .offset:         88
        .size:           8
        .value_kind:     global_buffer
      - .actual_access:  read_only
        .address_space:  global
        .offset:         96
        .size:           8
        .value_kind:     global_buffer
      - .actual_access:  read_only
        .address_space:  global
        .offset:         104
        .size:           8
        .value_kind:     global_buffer
      - .actual_access:  read_only
        .address_space:  global
        .offset:         112
        .size:           8
        .value_kind:     global_buffer
      - .actual_access:  read_only
        .address_space:  global
        .offset:         120
        .size:           8
        .value_kind:     global_buffer
      - .actual_access:  read_only
        .address_space:  global
        .offset:         128
        .size:           8
        .value_kind:     global_buffer
      - .actual_access:  read_only
        .address_space:  global
        .offset:         136
        .size:           8
        .value_kind:     global_buffer
      - .actual_access:  read_only
        .address_space:  global
        .offset:         144
        .size:           8
        .value_kind:     global_buffer
      - .offset:         152
        .size:           8
        .value_kind:     by_value
      - .offset:         160
        .size:           8
        .value_kind:     by_value
      - .offset:         168
        .size:           8
        .value_kind:     by_value
      - .offset:         176
        .size:           8
        .value_kind:     by_value
      - .offset:         184
        .size:           4
        .value_kind:     by_value
      - .offset:         192
        .size:           4
        .value_kind:     hidden_block_count_x
      - .offset:         196
        .size:           4
        .value_kind:     hidden_block_count_y
      - .offset:         200
        .size:           4
        .value_kind:     hidden_block_count_z
      - .offset:         204
        .size:           2
        .value_kind:     hidden_group_size_x
      - .offset:         206
        .size:           2
        .value_kind:     hidden_group_size_y
      - .offset:         208
        .size:           2
        .value_kind:     hidden_group_size_z
      - .offset:         210
        .size:           2
        .value_kind:     hidden_remainder_x
      - .offset:         212
        .size:           2
        .value_kind:     hidden_remainder_y
      - .offset:         214
        .size:           2
        .value_kind:     hidden_remainder_z
      - .offset:         232
        .size:           8
        .value_kind:     hidden_global_offset_x
      - .offset:         240
        .size:           8
        .value_kind:     hidden_global_offset_y
      - .offset:         248
        .size:           8
        .value_kind:     hidden_global_offset_z
      - .offset:         256
        .size:           2
        .value_kind:     hidden_grid_dims
    .group_segment_fixed_size: 0
    .kernarg_segment_align: 8
    .kernarg_segment_size: 448
    .language:       OpenCL C
    .language_version:
      - 2
      - 0
    .max_flat_workgroup_size: 1024
    .name:           _Z22calcMonotonicQForElemsPKiPKdPdS3_S2_S2_S2_S2_S2_S2_S2_S2_S0_S0_S0_S0_S0_S0_S2_ddddi
    .private_segment_fixed_size: 0
    .sgpr_count:     46
    .sgpr_spill_count: 0
    .symbol:         _Z22calcMonotonicQForElemsPKiPKdPdS3_S2_S2_S2_S2_S2_S2_S2_S2_S0_S0_S0_S0_S0_S0_S2_ddddi.kd
    .uniform_work_group_size: 1
    .uses_dynamic_stack: false
    .vgpr_count:     60
    .vgpr_spill_count: 0
    .wavefront_size: 32
    .workgroup_processor_mode: 1
  - .args:
      - .actual_access:  read_only
        .address_space:  global
        .offset:         0
        .size:           8
        .value_kind:     global_buffer
      - .actual_access:  read_only
        .address_space:  global
        .offset:         8
        .size:           8
        .value_kind:     global_buffer
      - .actual_access:  read_only
        .address_space:  global
        .offset:         16
        .size:           8
        .value_kind:     global_buffer
      - .actual_access:  read_only
        .address_space:  global
        .offset:         24
        .size:           8
        .value_kind:     global_buffer
      - .actual_access:  read_only
        .address_space:  global
        .offset:         32
        .size:           8
        .value_kind:     global_buffer
      - .address_space:  global
        .offset:         40
        .size:           8
        .value_kind:     global_buffer
      - .address_space:  global
        .offset:         48
        .size:           8
        .value_kind:     global_buffer
      - .address_space:  global
        .offset:         56
        .size:           8
        .value_kind:     global_buffer
      - .actual_access:  write_only
        .address_space:  global
        .offset:         64
        .size:           8
        .value_kind:     global_buffer
      - .actual_access:  write_only
        .address_space:  global
        .offset:         72
        .size:           8
        .value_kind:     global_buffer
      - .address_space:  global
        .offset:         80
        .size:           8
        .value_kind:     global_buffer
      - .offset:         88
        .size:           8
        .value_kind:     by_value
      - .offset:         96
        .size:           8
        .value_kind:     by_value
      - .offset:         104
        .size:           8
        .value_kind:     by_value
      - .offset:         112
        .size:           8
        .value_kind:     by_value
      - .offset:         120
        .size:           8
        .value_kind:     by_value
      - .offset:         128
        .size:           8
        .value_kind:     by_value
      - .offset:         136
        .size:           8
        .value_kind:     by_value
      - .offset:         144
        .size:           8
        .value_kind:     by_value
      - .offset:         152
        .size:           8
        .value_kind:     by_value
      - .offset:         160
        .size:           8
        .value_kind:     by_value
      - .offset:         168
        .size:           4
        .value_kind:     by_value
      - .offset:         176
        .size:           4
        .value_kind:     hidden_block_count_x
      - .offset:         180
        .size:           4
        .value_kind:     hidden_block_count_y
      - .offset:         184
        .size:           4
        .value_kind:     hidden_block_count_z
      - .offset:         188
        .size:           2
        .value_kind:     hidden_group_size_x
      - .offset:         190
        .size:           2
        .value_kind:     hidden_group_size_y
      - .offset:         192
        .size:           2
        .value_kind:     hidden_group_size_z
      - .offset:         194
        .size:           2
        .value_kind:     hidden_remainder_x
      - .offset:         196
        .size:           2
        .value_kind:     hidden_remainder_y
      - .offset:         198
        .size:           2
        .value_kind:     hidden_remainder_z
      - .offset:         216
        .size:           8
        .value_kind:     hidden_global_offset_x
      - .offset:         224
        .size:           8
        .value_kind:     hidden_global_offset_y
      - .offset:         232
        .size:           8
        .value_kind:     hidden_global_offset_z
      - .offset:         240
        .size:           2
        .value_kind:     hidden_grid_dims
    .group_segment_fixed_size: 0
    .kernarg_segment_align: 8
    .kernarg_segment_size: 432
    .language:       OpenCL C
    .language_version:
      - 2
      - 0
    .max_flat_workgroup_size: 1024
    .name:           _Z31applyMaterialPropertiesForElemsPKdS0_S0_PKiS2_PdS3_S3_S3_S3_S3_ddddddddddi
    .private_segment_fixed_size: 0
    .sgpr_count:     30
    .sgpr_spill_count: 0
    .symbol:         _Z31applyMaterialPropertiesForElemsPKdS0_S0_PKiS2_PdS3_S3_S3_S3_S3_ddddddddddi.kd
    .uniform_work_group_size: 1
    .uses_dynamic_stack: false
    .vgpr_count:     42
    .vgpr_spill_count: 0
    .wavefront_size: 32
    .workgroup_processor_mode: 1
amdhsa.target:   amdgcn-amd-amdhsa--gfx1030
amdhsa.version:
  - 1
  - 2
...

	.end_amdgpu_metadata
